;; amdgpu-corpus repo=ROCm/rocFFT kind=compiled arch=gfx906 opt=O3
	.text
	.amdgcn_target "amdgcn-amd-amdhsa--gfx906"
	.amdhsa_code_object_version 6
	.protected	bluestein_single_fwd_len578_dim1_sp_op_CI_CI ; -- Begin function bluestein_single_fwd_len578_dim1_sp_op_CI_CI
	.globl	bluestein_single_fwd_len578_dim1_sp_op_CI_CI
	.p2align	8
	.type	bluestein_single_fwd_len578_dim1_sp_op_CI_CI,@function
bluestein_single_fwd_len578_dim1_sp_op_CI_CI: ; @bluestein_single_fwd_len578_dim1_sp_op_CI_CI
; %bb.0:
	v_mul_u32_u24_e32 v1, 0x788, v0
	s_load_dwordx4 s[8:11], s[4:5], 0x28
	v_lshrrev_b32_e32 v1, 16, v1
	v_mad_u64_u32 v[80:81], s[0:1], s6, 7, v[1:2]
	v_mov_b32_e32 v81, 0
	s_waitcnt lgkmcnt(0)
	v_cmp_gt_u64_e32 vcc, s[8:9], v[80:81]
	s_and_saveexec_b64 s[0:1], vcc
	s_cbranch_execz .LBB0_10
; %bb.1:
	s_load_dwordx4 s[0:3], s[4:5], 0x18
	s_load_dwordx4 s[12:15], s[4:5], 0x0
	s_mov_b32 s6, 0x24924925
	v_mul_hi_u32 v2, v80, s6
	v_mul_lo_u16_e32 v1, 34, v1
	s_waitcnt lgkmcnt(0)
	s_load_dwordx4 s[16:19], s[0:1], 0x0
	v_sub_u16_e32 v122, v0, v1
	v_sub_u32_e32 v0, v80, v2
	v_lshrrev_b32_e32 v3, 1, v0
	v_add_u32_e32 v7, v3, v2
	s_waitcnt lgkmcnt(0)
	v_mad_u64_u32 v[0:1], s[0:1], s18, v80, 0
	v_mad_u64_u32 v[2:3], s[0:1], s16, v122, 0
	v_lshlrev_b32_e32 v37, 3, v122
	s_mov_b32 s7, 0x3ee437d1
	v_mad_u64_u32 v[4:5], s[0:1], s19, v80, v[1:2]
	v_mov_b32_e32 v1, v3
	v_mad_u64_u32 v[5:6], s[0:1], s17, v122, v[1:2]
	v_lshrrev_b32_e32 v1, 2, v7
	v_mul_lo_u32 v36, v1, 7
	v_mov_b32_e32 v1, v4
	v_lshlrev_b64 v[0:1], 3, v[0:1]
	v_mov_b32_e32 v3, v5
	v_mov_b32_e32 v4, s11
	v_add_co_u32_e32 v5, vcc, s10, v0
	v_addc_co_u32_e32 v4, vcc, v4, v1, vcc
	v_lshlrev_b64 v[0:1], 3, v[2:3]
	v_mov_b32_e32 v2, s13
	v_add_co_u32_e32 v0, vcc, v5, v0
	v_addc_co_u32_e32 v1, vcc, v4, v1, vcc
	v_add_co_u32_e32 v34, vcc, s12, v37
	s_mul_i32 s0, s17, 0x110
	s_mul_hi_u32 s1, s16, 0x110
	v_addc_co_u32_e32 v35, vcc, 0, v2, vcc
	s_add_i32 s0, s1, s0
	s_mul_i32 s1, s16, 0x110
	v_mov_b32_e32 v3, s0
	v_add_co_u32_e32 v2, vcc, s1, v0
	v_addc_co_u32_e32 v3, vcc, v1, v3, vcc
	v_mov_b32_e32 v5, s0
	v_add_co_u32_e32 v4, vcc, s1, v2
	v_addc_co_u32_e32 v5, vcc, v3, v5, vcc
	;; [unrolled: 3-line block ×3, first 2 shown]
	global_load_dwordx2 v[8:9], v[0:1], off
	global_load_dwordx2 v[10:11], v[2:3], off
	;; [unrolled: 1-line block ×4, first 2 shown]
	global_load_dwordx2 v[97:98], v37, s[12:13]
	global_load_dwordx2 v[95:96], v37, s[12:13] offset:272
	global_load_dwordx2 v[91:92], v37, s[12:13] offset:544
	;; [unrolled: 1-line block ×3, first 2 shown]
	v_mov_b32_e32 v1, s0
	v_add_co_u32_e32 v0, vcc, s1, v6
	v_addc_co_u32_e32 v1, vcc, v7, v1, vcc
	global_load_dwordx2 v[2:3], v[0:1], off
	v_mov_b32_e32 v4, s0
	v_add_co_u32_e32 v0, vcc, s1, v0
	v_addc_co_u32_e32 v1, vcc, v1, v4, vcc
	global_load_dwordx2 v[4:5], v[0:1], off
	;; [unrolled: 4-line block ×4, first 2 shown]
	global_load_dwordx2 v[93:94], v37, s[12:13] offset:1088
	global_load_dwordx2 v[89:90], v37, s[12:13] offset:1360
	;; [unrolled: 1-line block ×4, first 2 shown]
	v_mov_b32_e32 v18, s0
	v_add_co_u32_e32 v0, vcc, s1, v0
	v_addc_co_u32_e32 v1, vcc, v1, v18, vcc
	global_load_dwordx2 v[18:19], v[0:1], off
	v_mov_b32_e32 v20, s0
	v_add_co_u32_e32 v0, vcc, s1, v0
	v_addc_co_u32_e32 v1, vcc, v1, v20, vcc
	global_load_dwordx2 v[20:21], v[0:1], off
	;; [unrolled: 4-line block ×4, first 2 shown]
	global_load_dwordx2 v[85:86], v37, s[12:13] offset:2176
	global_load_dwordx2 v[81:82], v37, s[12:13] offset:2448
	;; [unrolled: 1-line block ×4, first 2 shown]
	v_mov_b32_e32 v26, s0
	v_add_co_u32_e32 v0, vcc, s1, v0
	v_addc_co_u32_e32 v1, vcc, v1, v26, vcc
	global_load_dwordx2 v[26:27], v[0:1], off
	global_load_dwordx2 v[70:71], v37, s[12:13] offset:3264
	v_mov_b32_e32 v28, s0
	v_add_co_u32_e32 v0, vcc, s1, v0
	v_addc_co_u32_e32 v1, vcc, v1, v28, vcc
	global_load_dwordx2 v[28:29], v[0:1], off
	v_mov_b32_e32 v30, s0
	v_add_co_u32_e32 v0, vcc, s1, v0
	v_addc_co_u32_e32 v1, vcc, v1, v30, vcc
	global_load_dwordx2 v[30:31], v[0:1], off
	;; [unrolled: 4-line block ×3, first 2 shown]
	global_load_dwordx2 v[74:75], v37, s[12:13] offset:3536
	global_load_dwordx2 v[68:69], v37, s[12:13] offset:3808
	;; [unrolled: 1-line block ×3, first 2 shown]
	v_mov_b32_e32 v38, s0
	v_add_co_u32_e32 v0, vcc, s1, v0
	v_addc_co_u32_e32 v1, vcc, v1, v38, vcc
	s_movk_i32 s0, 0x1000
	v_add_co_u32_e32 v34, vcc, s0, v34
	v_addc_co_u32_e32 v35, vcc, 0, v35, vcc
	global_load_dwordx2 v[0:1], v[0:1], off
	s_load_dwordx4 s[8:11], s[2:3], 0x0
	global_load_dwordx2 v[64:65], v[34:35], off offset:256
	v_sub_u32_e32 v34, v80, v36
	v_mul_u32_u24_e32 v35, 0x242, v34
	s_waitcnt vmcnt(29)
	v_mul_f32_e32 v34, v9, v98
	v_fmac_f32_e32 v34, v8, v97
	v_mul_f32_e32 v8, v8, v98
	v_lshlrev_b32_e32 v124, 3, v35
	v_fma_f32 v35, v9, v97, -v8
	s_waitcnt vmcnt(28)
	v_mul_f32_e32 v8, v11, v96
	v_mul_f32_e32 v9, v10, v96
	v_add_u32_e32 v121, v37, v124
	v_fmac_f32_e32 v8, v10, v95
	v_fma_f32 v9, v11, v95, -v9
	ds_write2_b64 v121, v[34:35], v[8:9] offset1:34
	s_waitcnt vmcnt(27)
	v_mul_f32_e32 v8, v13, v92
	v_mul_f32_e32 v9, v12, v92
	s_waitcnt vmcnt(26)
	v_mul_f32_e32 v10, v15, v88
	v_mul_f32_e32 v11, v14, v88
	v_fmac_f32_e32 v8, v12, v91
	v_fma_f32 v9, v13, v91, -v9
	v_fmac_f32_e32 v10, v14, v87
	v_fma_f32 v11, v15, v87, -v11
	ds_write2_b64 v121, v[8:9], v[10:11] offset0:68 offset1:102
	s_waitcnt vmcnt(21)
	v_mul_f32_e32 v8, v3, v94
	v_fmac_f32_e32 v8, v2, v93
	v_mul_f32_e32 v2, v2, v94
	v_fma_f32 v9, v3, v93, -v2
	s_waitcnt vmcnt(20)
	v_mul_f32_e32 v2, v5, v90
	v_mul_f32_e32 v3, v4, v90
	v_fmac_f32_e32 v2, v4, v89
	v_fma_f32 v3, v5, v89, -v3
	ds_write2_b64 v121, v[8:9], v[2:3] offset0:136 offset1:170
	s_waitcnt vmcnt(19)
	v_mul_f32_e32 v2, v7, v84
	v_mul_f32_e32 v3, v6, v84
	s_waitcnt vmcnt(18)
	v_mul_f32_e32 v4, v17, v79
	v_mul_f32_e32 v5, v16, v79
	v_fmac_f32_e32 v2, v6, v83
	v_fma_f32 v3, v7, v83, -v3
	v_fmac_f32_e32 v4, v16, v78
	v_fma_f32 v5, v17, v78, -v5
	ds_write2_b64 v121, v[2:3], v[4:5] offset0:204 offset1:238
	s_waitcnt vmcnt(13)
	v_mul_f32_e32 v2, v19, v86
	v_mul_f32_e32 v3, v18, v86
	s_waitcnt vmcnt(12)
	v_mul_f32_e32 v4, v21, v82
	v_mul_f32_e32 v5, v20, v82
	v_fmac_f32_e32 v2, v18, v85
	v_fma_f32 v3, v19, v85, -v3
	v_fmac_f32_e32 v4, v20, v81
	v_fma_f32 v5, v21, v81, -v5
	v_add_u32_e32 v44, 0x800, v121
	ds_write2_b64 v44, v[2:3], v[4:5] offset0:16 offset1:50
	s_waitcnt vmcnt(11)
	v_mul_f32_e32 v2, v23, v77
	v_mul_f32_e32 v3, v22, v77
	s_waitcnt vmcnt(10)
	v_mul_f32_e32 v4, v25, v73
	v_mul_f32_e32 v5, v24, v73
	v_fmac_f32_e32 v2, v22, v76
	v_fma_f32 v3, v23, v76, -v3
	v_fmac_f32_e32 v4, v24, v72
	v_fma_f32 v5, v25, v72, -v5
	ds_write2_b64 v44, v[2:3], v[4:5] offset0:84 offset1:118
	s_waitcnt vmcnt(8)
	v_mul_f32_e32 v2, v27, v71
	v_mul_f32_e32 v3, v26, v71
	v_fmac_f32_e32 v2, v26, v70
	v_fma_f32 v3, v27, v70, -v3
	s_mov_b32 s3, 0x3f6eb680
	s_waitcnt vmcnt(4)
	v_mul_f32_e32 v4, v29, v75
	v_mul_f32_e32 v5, v28, v75
	v_fmac_f32_e32 v4, v28, v74
	v_fma_f32 v5, v29, v74, -v5
	ds_write2_b64 v44, v[2:3], v[4:5] offset0:152 offset1:186
	s_waitcnt vmcnt(3)
	v_mul_f32_e32 v2, v31, v69
	v_mul_f32_e32 v3, v30, v69
	s_waitcnt vmcnt(2)
	v_mul_f32_e32 v4, v33, v67
	v_mul_f32_e32 v5, v32, v67
	v_fmac_f32_e32 v2, v30, v68
	v_fma_f32 v3, v31, v68, -v3
	v_fmac_f32_e32 v4, v32, v66
	v_fma_f32 v5, v33, v66, -v5
	ds_write2_b64 v44, v[2:3], v[4:5] offset0:220 offset1:254
	s_mov_b32 s2, 0x3f3d2fb0
	s_waitcnt vmcnt(0)
	v_mul_f32_e32 v2, v1, v65
	v_fmac_f32_e32 v2, v0, v64
	v_mul_f32_e32 v0, v0, v65
	v_fma_f32 v3, v1, v64, -v0
	ds_write_b64 v121, v[2:3] offset:4352
	s_waitcnt lgkmcnt(0)
	s_barrier
	ds_read2_b64 v[14:17], v121 offset1:34
	ds_read2_b64 v[18:21], v121 offset0:68 offset1:102
	ds_read2_b64 v[22:25], v121 offset0:136 offset1:170
	;; [unrolled: 1-line block ×7, first 2 shown]
	ds_read_b64 v[34:35], v121 offset:4352
	s_waitcnt lgkmcnt(8)
	v_add_f32_e32 v12, v14, v16
	v_add_f32_e32 v13, v15, v17
	s_waitcnt lgkmcnt(7)
	v_add_f32_e32 v12, v12, v18
	v_add_f32_e32 v13, v13, v19
	v_add_f32_e32 v12, v12, v20
	v_add_f32_e32 v13, v13, v21
	s_waitcnt lgkmcnt(6)
	v_add_f32_e32 v12, v12, v22
	v_add_f32_e32 v13, v13, v23
	;; [unrolled: 5-line block ×7, first 2 shown]
	v_add_f32_e32 v12, v12, v32
	s_waitcnt lgkmcnt(0)
	v_add_f32_e32 v36, v34, v16
	v_add_f32_e32 v37, v35, v17
	v_sub_f32_e32 v16, v16, v34
	v_sub_f32_e32 v17, v17, v35
	v_add_f32_e32 v13, v13, v33
	v_add_f32_e32 v12, v12, v34
	v_mul_f32_e32 v34, 0xbeb8f4ab, v17
	v_mul_f32_e32 v38, 0xbeb8f4ab, v16
	;; [unrolled: 1-line block ×7, first 2 shown]
	s_mov_b32 s6, 0x3dbcf732
	v_mul_f32_e32 v51, 0xbf7ee86f, v16
	v_mul_f32_e32 v53, 0xbf763a35, v17
	s_mov_b32 s16, 0xbe8c1d8e
	v_mul_f32_e32 v55, 0xbf763a35, v16
	v_mul_f32_e32 v57, 0xbf4c4adb, v17
	;; [unrolled: 3-line block ×4, first 2 shown]
	s_mov_b32 s18, 0xbf7ba420
	v_mul_f32_e32 v16, 0xbe3c28d5, v16
	v_add_f32_e32 v13, v13, v35
	v_fma_f32 v35, v36, s3, -v34
	v_mov_b32_e32 v39, v38
	v_fmac_f32_e32 v34, 0x3f6eb680, v36
	v_fma_f32 v41, v36, s2, -v40
	v_mov_b32_e32 v43, v42
	v_fmac_f32_e32 v40, 0x3f3d2fb0, v36
	;; [unrolled: 3-line block ×8, first 2 shown]
	v_add_f32_e32 v35, v14, v35
	v_fmac_f32_e32 v39, 0x3f6eb680, v37
	v_add_f32_e32 v34, v14, v34
	v_fma_f32 v38, v37, s3, -v38
	v_add_f32_e32 v41, v14, v41
	v_fmac_f32_e32 v43, 0x3f3d2fb0, v37
	v_add_f32_e32 v40, v14, v40
	v_fma_f32 v42, v37, s2, -v42
	v_add_f32_e32 v46, v14, v46
	v_fmac_f32_e32 v48, 0x3ee437d1, v37
	v_add_f32_e32 v45, v14, v45
	v_fma_f32 v47, v37, s7, -v47
	v_add_f32_e32 v50, v14, v50
	v_fmac_f32_e32 v52, 0x3dbcf732, v37
	v_add_f32_e32 v49, v14, v49
	v_fma_f32 v51, v37, s6, -v51
	v_add_f32_e32 v54, v14, v54
	v_fmac_f32_e32 v56, 0xbe8c1d8e, v37
	v_add_f32_e32 v53, v14, v53
	v_fma_f32 v55, v37, s16, -v55
	v_add_f32_e32 v58, v14, v58
	v_fmac_f32_e32 v60, 0xbf1a4643, v37
	v_add_f32_e32 v57, v14, v57
	v_fma_f32 v59, v37, s17, -v59
	v_add_f32_e32 v62, v14, v62
	v_fmac_f32_e32 v99, 0xbf59a7d5, v37
	v_add_f32_e32 v61, v14, v61
	v_fma_f32 v63, v37, s19, -v63
	v_add_f32_e32 v100, v14, v100
	v_fmac_f32_e32 v101, 0xbf7ba420, v37
	v_add_f32_e32 v14, v14, v17
	v_fma_f32 v16, v37, s18, -v16
	v_add_f32_e32 v17, v33, v19
	v_sub_f32_e32 v19, v19, v33
	v_add_f32_e32 v39, v15, v39
	v_add_f32_e32 v38, v15, v38
	;; [unrolled: 1-line block ×17, first 2 shown]
	v_sub_f32_e32 v18, v18, v32
	v_mul_f32_e32 v32, 0xbf2c7751, v19
	v_fma_f32 v33, v16, s2, -v32
	v_add_f32_e32 v33, v33, v35
	v_mul_f32_e32 v35, 0xbf2c7751, v18
	v_fmac_f32_e32 v32, 0x3f3d2fb0, v16
	v_mov_b32_e32 v36, v35
	v_add_f32_e32 v32, v32, v34
	v_fma_f32 v34, v17, s2, -v35
	v_mul_f32_e32 v35, 0xbf7ee86f, v19
	v_fma_f32 v37, v16, s6, -v35
	v_fmac_f32_e32 v35, 0x3dbcf732, v16
	v_fmac_f32_e32 v36, 0x3f3d2fb0, v17
	v_add_f32_e32 v34, v34, v38
	v_mul_f32_e32 v38, 0xbf7ee86f, v18
	v_add_f32_e32 v35, v35, v40
	v_mul_f32_e32 v40, 0xbf4c4adb, v19
	v_add_f32_e32 v36, v36, v39
	v_add_f32_e32 v37, v37, v41
	v_mov_b32_e32 v39, v38
	v_fma_f32 v38, v17, s6, -v38
	v_fma_f32 v41, v16, s17, -v40
	v_fmac_f32_e32 v40, 0xbf1a4643, v16
	v_fmac_f32_e32 v39, 0x3dbcf732, v17
	v_add_f32_e32 v38, v38, v42
	v_mul_f32_e32 v42, 0xbf4c4adb, v18
	v_add_f32_e32 v40, v40, v45
	v_mul_f32_e32 v45, 0xbe3c28d5, v19
	v_add_f32_e32 v39, v39, v43
	v_add_f32_e32 v41, v41, v46
	v_mov_b32_e32 v43, v42
	v_fma_f32 v42, v17, s17, -v42
	;; [unrolled: 11-line block ×5, first 2 shown]
	v_fma_f32 v58, v16, s7, -v57
	v_fmac_f32_e32 v57, 0x3ee437d1, v16
	v_mul_f32_e32 v19, 0x3eb8f4ab, v19
	v_add_f32_e32 v55, v55, v59
	v_mul_f32_e32 v59, 0x3f65296c, v18
	v_add_f32_e32 v57, v57, v61
	v_fma_f32 v61, v16, s3, -v19
	v_mul_f32_e32 v18, 0x3eb8f4ab, v18
	v_fmac_f32_e32 v19, 0x3f6eb680, v16
	v_fmac_f32_e32 v56, 0xbe8c1d8e, v17
	v_add_f32_e32 v14, v19, v14
	v_fma_f32 v16, v17, s3, -v18
	v_sub_f32_e32 v19, v21, v31
	v_add_f32_e32 v56, v56, v60
	v_add_f32_e32 v58, v58, v62
	v_mov_b32_e32 v60, v59
	v_mov_b32_e32 v62, v18
	v_add_f32_e32 v15, v16, v15
	v_add_f32_e32 v16, v30, v20
	v_sub_f32_e32 v18, v20, v30
	v_mul_f32_e32 v20, 0xbf65296c, v19
	v_fmac_f32_e32 v60, 0x3ee437d1, v17
	v_fma_f32 v59, v17, s7, -v59
	v_fmac_f32_e32 v62, 0x3f6eb680, v17
	v_add_f32_e32 v17, v31, v21
	v_fma_f32 v21, v16, s7, -v20
	v_fmac_f32_e32 v20, 0x3ee437d1, v16
	v_mul_f32_e32 v30, 0xbf65296c, v18
	v_add_f32_e32 v20, v20, v32
	v_mul_f32_e32 v32, 0xbf4c4adb, v19
	v_add_f32_e32 v21, v21, v33
	v_mov_b32_e32 v31, v30
	v_fma_f32 v30, v17, s7, -v30
	v_fma_f32 v33, v16, s17, -v32
	v_fmac_f32_e32 v32, 0xbf1a4643, v16
	v_fmac_f32_e32 v31, 0x3ee437d1, v17
	v_add_f32_e32 v30, v30, v34
	v_mul_f32_e32 v34, 0xbf4c4adb, v18
	v_add_f32_e32 v32, v32, v35
	v_mul_f32_e32 v35, 0x3e3c28d5, v19
	v_add_f32_e32 v31, v31, v36
	v_add_f32_e32 v33, v33, v37
	v_mov_b32_e32 v36, v34
	v_fma_f32 v34, v17, s17, -v34
	v_fma_f32 v37, v16, s18, -v35
	v_fmac_f32_e32 v35, 0xbf7ba420, v16
	v_fmac_f32_e32 v36, 0xbf1a4643, v17
	v_add_f32_e32 v34, v34, v38
	v_mul_f32_e32 v38, 0x3e3c28d5, v18
	v_add_f32_e32 v35, v35, v40
	v_mul_f32_e32 v40, 0x3f763a35, v19
	v_add_f32_e32 v36, v36, v39
	;; [unrolled: 11-line block ×5, first 2 shown]
	v_add_f32_e32 v50, v50, v54
	v_mov_b32_e32 v52, v51
	v_fma_f32 v51, v17, s3, -v51
	v_fma_f32 v54, v16, s6, -v53
	v_fmac_f32_e32 v53, 0x3dbcf732, v16
	v_mul_f32_e32 v19, 0xbf06c442, v19
	v_add_f32_e32 v51, v51, v55
	v_mul_f32_e32 v55, 0xbf7ee86f, v18
	v_add_f32_e32 v53, v53, v57
	v_fma_f32 v57, v16, s19, -v19
	v_mul_f32_e32 v18, 0xbf06c442, v18
	v_fmac_f32_e32 v19, 0xbf59a7d5, v16
	v_fmac_f32_e32 v52, 0x3f6eb680, v17
	v_add_f32_e32 v14, v19, v14
	v_fma_f32 v16, v17, s19, -v18
	v_sub_f32_e32 v19, v23, v29
	v_add_f32_e32 v52, v52, v56
	v_add_f32_e32 v54, v54, v58
	v_mov_b32_e32 v56, v55
	v_mov_b32_e32 v58, v18
	v_add_f32_e32 v15, v16, v15
	v_add_f32_e32 v16, v28, v22
	v_sub_f32_e32 v18, v22, v28
	v_mul_f32_e32 v22, 0xbf7ee86f, v19
	v_fmac_f32_e32 v56, 0x3dbcf732, v17
	v_fma_f32 v55, v17, s6, -v55
	v_fmac_f32_e32 v58, 0xbf59a7d5, v17
	v_add_f32_e32 v17, v29, v23
	v_fma_f32 v23, v16, s6, -v22
	v_add_f32_e32 v21, v23, v21
	v_mul_f32_e32 v23, 0xbf7ee86f, v18
	v_fmac_f32_e32 v22, 0x3dbcf732, v16
	v_mov_b32_e32 v28, v23
	v_add_f32_e32 v20, v22, v20
	v_fma_f32 v22, v17, s6, -v23
	v_mul_f32_e32 v23, 0xbe3c28d5, v19
	v_fma_f32 v29, v16, s18, -v23
	v_fmac_f32_e32 v23, 0xbf7ba420, v16
	v_fmac_f32_e32 v28, 0x3dbcf732, v17
	v_add_f32_e32 v22, v22, v30
	v_mul_f32_e32 v30, 0xbe3c28d5, v18
	v_add_f32_e32 v23, v23, v32
	v_mul_f32_e32 v32, 0x3f763a35, v19
	v_add_f32_e32 v28, v28, v31
	v_add_f32_e32 v29, v29, v33
	v_mov_b32_e32 v31, v30
	v_fma_f32 v30, v17, s18, -v30
	v_fma_f32 v33, v16, s16, -v32
	v_fmac_f32_e32 v32, 0xbe8c1d8e, v16
	v_fmac_f32_e32 v31, 0xbf7ba420, v17
	v_add_f32_e32 v30, v30, v34
	v_mul_f32_e32 v34, 0x3f763a35, v18
	v_add_f32_e32 v32, v32, v35
	v_mul_f32_e32 v35, 0x3eb8f4ab, v19
	v_add_f32_e32 v31, v31, v36
	v_add_f32_e32 v33, v33, v37
	v_mov_b32_e32 v36, v34
	v_fma_f32 v34, v17, s16, -v34
	v_fma_f32 v37, v16, s3, -v35
	v_fmac_f32_e32 v35, 0x3f6eb680, v16
	v_fmac_f32_e32 v36, 0xbe8c1d8e, v17
	v_add_f32_e32 v34, v34, v38
	v_mul_f32_e32 v38, 0x3eb8f4ab, v18
	v_add_f32_e32 v35, v35, v40
	v_mul_f32_e32 v40, 0xbf65296c, v19
	v_add_f32_e32 v36, v36, v39
	v_add_f32_e32 v37, v37, v41
	v_mov_b32_e32 v39, v38
	v_fma_f32 v38, v17, s3, -v38
	v_fma_f32 v41, v16, s7, -v40
	v_fmac_f32_e32 v40, 0x3ee437d1, v16
	v_fmac_f32_e32 v39, 0x3f6eb680, v17
	v_add_f32_e32 v38, v38, v42
	v_mul_f32_e32 v42, 0xbf65296c, v18
	v_add_f32_e32 v40, v40, v45
	v_mul_f32_e32 v45, 0xbf06c442, v19
	v_add_f32_e32 v39, v39, v43
	v_add_f32_e32 v41, v41, v46
	v_mov_b32_e32 v43, v42
	v_fma_f32 v42, v17, s7, -v42
	v_fma_f32 v46, v16, s19, -v45
	v_fmac_f32_e32 v45, 0xbf59a7d5, v16
	v_fmac_f32_e32 v43, 0x3ee437d1, v17
	v_add_f32_e32 v42, v42, v47
	v_mul_f32_e32 v47, 0xbf06c442, v18
	v_add_f32_e32 v45, v45, v49
	v_mul_f32_e32 v49, 0x3f4c4adb, v19
	v_add_f32_e32 v43, v43, v48
	v_add_f32_e32 v46, v46, v50
	v_mov_b32_e32 v48, v47
	v_fma_f32 v47, v17, s19, -v47
	v_fma_f32 v50, v16, s17, -v49
	v_fmac_f32_e32 v49, 0xbf1a4643, v16
	v_mul_f32_e32 v19, 0x3f2c7751, v19
	v_add_f32_e32 v47, v47, v51
	v_mul_f32_e32 v51, 0x3f4c4adb, v18
	v_add_f32_e32 v49, v49, v53
	v_fma_f32 v53, v16, s2, -v19
	v_mul_f32_e32 v18, 0x3f2c7751, v18
	v_fmac_f32_e32 v19, 0x3f3d2fb0, v16
	v_fmac_f32_e32 v48, 0xbf59a7d5, v17
	v_add_f32_e32 v14, v19, v14
	v_fma_f32 v16, v17, s2, -v18
	v_sub_f32_e32 v19, v25, v27
	v_add_f32_e32 v48, v48, v52
	v_add_f32_e32 v50, v50, v54
	v_mov_b32_e32 v52, v51
	v_mov_b32_e32 v54, v18
	v_add_f32_e32 v15, v16, v15
	v_add_f32_e32 v16, v26, v24
	v_sub_f32_e32 v18, v24, v26
	v_mul_f32_e32 v24, 0xbf763a35, v19
	v_fmac_f32_e32 v52, 0xbf1a4643, v17
	v_fma_f32 v51, v17, s17, -v51
	v_fmac_f32_e32 v54, 0x3f3d2fb0, v17
	v_add_f32_e32 v17, v27, v25
	v_fma_f32 v25, v16, s16, -v24
	v_add_f32_e32 v21, v25, v21
	v_mul_f32_e32 v25, 0xbf763a35, v18
	v_fmac_f32_e32 v24, 0xbe8c1d8e, v16
	v_add_f32_e32 v20, v24, v20
	v_fma_f32 v24, v17, s16, -v25
	v_mov_b32_e32 v26, v25
	v_add_f32_e32 v22, v24, v22
	v_mul_f32_e32 v24, 0x3f06c442, v19
	v_fmac_f32_e32 v26, 0xbe8c1d8e, v17
	v_fma_f32 v25, v16, s19, -v24
	v_mul_f32_e32 v27, 0x3f06c442, v18
	v_fmac_f32_e32 v24, 0xbf59a7d5, v16
	v_add_f32_e32 v26, v26, v28
	v_mov_b32_e32 v28, v27
	v_add_f32_e32 v23, v24, v23
	v_fma_f32 v24, v17, s19, -v27
	v_mul_f32_e32 v27, 0x3f2c7751, v19
	v_add_f32_e32 v25, v25, v29
	v_fmac_f32_e32 v28, 0xbf59a7d5, v17
	v_add_f32_e32 v24, v24, v30
	v_fma_f32 v29, v16, s2, -v27
	v_mul_f32_e32 v30, 0x3f2c7751, v18
	v_fmac_f32_e32 v27, 0x3f3d2fb0, v16
	v_add_f32_e32 v28, v28, v31
	v_mov_b32_e32 v31, v30
	v_add_f32_e32 v27, v27, v32
	v_fma_f32 v30, v17, s2, -v30
	v_mul_f32_e32 v32, 0xbf65296c, v19
	v_add_f32_e32 v29, v29, v33
	v_fmac_f32_e32 v31, 0x3f3d2fb0, v17
	v_add_f32_e32 v30, v30, v34
	;; [unrolled: 11-line block ×5, first 2 shown]
	v_fma_f32 v46, v16, s3, -v45
	v_mul_f32_e32 v47, 0xbeb8f4ab, v18
	v_mul_f32_e32 v18, 0xbf4c4adb, v18
	v_add_f32_e32 v43, v43, v48
	v_add_f32_e32 v46, v46, v50
	v_mov_b32_e32 v48, v47
	v_fmac_f32_e32 v45, 0x3f6eb680, v16
	v_mul_f32_e32 v19, 0xbf4c4adb, v19
	v_mov_b32_e32 v50, v18
	v_fmac_f32_e32 v48, 0x3f6eb680, v17
	v_add_f32_e32 v45, v45, v49
	v_fma_f32 v47, v17, s3, -v47
	v_fma_f32 v49, v16, s17, -v19
	v_fmac_f32_e32 v50, 0xbf1a4643, v17
	v_fmac_f32_e32 v19, 0xbf1a4643, v16
	v_fma_f32 v16, v17, s17, -v18
	v_add_f32_e32 v17, v11, v5
	v_sub_f32_e32 v5, v5, v11
	v_add_f32_e32 v15, v16, v15
	v_add_f32_e32 v16, v10, v4
	v_sub_f32_e32 v4, v4, v10
	v_mul_f32_e32 v10, 0xbf4c4adb, v5
	v_fma_f32 v11, v16, s17, -v10
	v_mul_f32_e32 v18, 0xbf4c4adb, v4
	v_fmac_f32_e32 v10, 0xbf1a4643, v16
	v_add_f32_e32 v14, v19, v14
	v_mov_b32_e32 v19, v18
	v_add_f32_e32 v10, v10, v20
	v_fma_f32 v18, v17, s17, -v18
	v_mul_f32_e32 v20, 0x3f763a35, v5
	v_add_f32_e32 v11, v11, v21
	v_add_f32_e32 v18, v18, v22
	v_fma_f32 v21, v16, s16, -v20
	v_mul_f32_e32 v22, 0x3f763a35, v4
	v_fmac_f32_e32 v20, 0xbe8c1d8e, v16
	v_fmac_f32_e32 v19, 0xbf1a4643, v17
	v_add_f32_e32 v21, v21, v25
	v_mov_b32_e32 v25, v22
	v_add_f32_e32 v20, v20, v23
	v_fma_f32 v22, v17, s16, -v22
	v_mul_f32_e32 v23, 0xbeb8f4ab, v5
	v_add_f32_e32 v19, v19, v26
	v_fmac_f32_e32 v25, 0xbe8c1d8e, v17
	v_add_f32_e32 v22, v22, v24
	v_fma_f32 v24, v16, s3, -v23
	v_mul_f32_e32 v26, 0xbeb8f4ab, v4
	v_fmac_f32_e32 v23, 0x3f6eb680, v16
	v_add_f32_e32 v25, v25, v28
	v_mov_b32_e32 v28, v26
	v_add_f32_e32 v23, v23, v27
	v_fma_f32 v26, v17, s3, -v26
	v_mul_f32_e32 v27, 0xbf06c442, v5
	v_add_f32_e32 v24, v24, v29
	v_fmac_f32_e32 v28, 0x3f6eb680, v17
	v_add_f32_e32 v26, v26, v30
	v_fma_f32 v29, v16, s19, -v27
	v_mul_f32_e32 v30, 0xbf06c442, v4
	v_fmac_f32_e32 v27, 0xbf59a7d5, v16
	v_add_f32_e32 v28, v28, v31
	v_mov_b32_e32 v31, v30
	v_add_f32_e32 v27, v27, v32
	v_fma_f32 v30, v17, s19, -v30
	v_mul_f32_e32 v32, 0x3f7ee86f, v5
	v_add_f32_e32 v29, v29, v33
	v_fmac_f32_e32 v31, 0xbf59a7d5, v17
	v_add_f32_e32 v30, v30, v34
	v_fma_f32 v33, v16, s6, -v32
	v_mul_f32_e32 v34, 0x3f7ee86f, v4
	v_fmac_f32_e32 v32, 0x3dbcf732, v16
	v_add_f32_e32 v31, v31, v36
	v_mov_b32_e32 v36, v34
	v_add_f32_e32 v32, v32, v35
	v_fma_f32 v34, v17, s6, -v34
	v_mul_f32_e32 v35, 0xbf2c7751, v5
	v_add_f32_e32 v33, v33, v37
	v_fmac_f32_e32 v36, 0x3dbcf732, v17
	v_add_f32_e32 v34, v34, v38
	v_fma_f32 v37, v16, s2, -v35
	v_mul_f32_e32 v38, 0xbf2c7751, v4
	v_fmac_f32_e32 v35, 0x3f3d2fb0, v16
	v_add_f32_e32 v36, v36, v39
	v_mov_b32_e32 v39, v38
	v_add_f32_e32 v35, v35, v40
	v_fma_f32 v38, v17, s2, -v38
	v_mul_f32_e32 v40, 0xbe3c28d5, v5
	v_add_f32_e32 v37, v37, v41
	v_add_f32_e32 v38, v38, v42
	v_fma_f32 v41, v16, s18, -v40
	v_mul_f32_e32 v42, 0xbe3c28d5, v4
	v_mul_f32_e32 v4, 0x3f65296c, v4
	v_add_f32_e32 v41, v41, v46
	v_fmac_f32_e32 v40, 0xbf7ba420, v16
	v_mul_f32_e32 v5, 0x3f65296c, v5
	v_mov_b32_e32 v46, v4
	v_fma_f32 v4, v17, s7, -v4
	v_add_f32_e32 v40, v40, v45
	v_fma_f32 v45, v16, s7, -v5
	v_fmac_f32_e32 v5, 0x3ee437d1, v16
	v_add_f32_e32 v4, v4, v15
	v_add_f32_e32 v15, v9, v7
	v_sub_f32_e32 v7, v7, v9
	v_add_f32_e32 v5, v5, v14
	v_add_f32_e32 v14, v8, v6
	v_sub_f32_e32 v6, v6, v8
	v_mul_f32_e32 v8, 0xbf06c442, v7
	v_fma_f32 v9, v14, s19, -v8
	v_fmac_f32_e32 v39, 0x3f3d2fb0, v17
	v_add_f32_e32 v9, v9, v11
	v_mul_f32_e32 v11, 0xbf06c442, v6
	v_fmac_f32_e32 v8, 0xbf59a7d5, v14
	v_add_f32_e32 v39, v39, v43
	v_mov_b32_e32 v43, v42
	v_mov_b32_e32 v16, v11
	v_add_f32_e32 v8, v8, v10
	v_fma_f32 v10, v15, s19, -v11
	v_mul_f32_e32 v11, 0x3f65296c, v7
	v_fmac_f32_e32 v43, 0xbf7ba420, v17
	v_fma_f32 v42, v17, s18, -v42
	v_fmac_f32_e32 v46, 0x3ee437d1, v17
	v_fmac_f32_e32 v16, 0xbf59a7d5, v15
	v_add_f32_e32 v10, v10, v18
	v_fma_f32 v17, v14, s7, -v11
	v_mul_f32_e32 v18, 0x3f65296c, v6
	v_fmac_f32_e32 v11, 0x3ee437d1, v14
	v_add_f32_e32 v16, v16, v19
	v_mov_b32_e32 v19, v18
	v_add_f32_e32 v11, v11, v20
	v_fma_f32 v18, v15, s7, -v18
	v_mul_f32_e32 v20, 0xbf7ee86f, v7
	v_add_f32_e32 v17, v17, v21
	v_add_f32_e32 v18, v18, v22
	v_fma_f32 v21, v14, s6, -v20
	v_mul_f32_e32 v22, 0xbf7ee86f, v6
	v_fmac_f32_e32 v20, 0x3dbcf732, v14
	v_fmac_f32_e32 v19, 0x3ee437d1, v15
	v_add_f32_e32 v21, v21, v24
	v_mov_b32_e32 v24, v22
	v_add_f32_e32 v20, v20, v23
	v_fma_f32 v22, v15, s6, -v22
	v_mul_f32_e32 v23, 0x3f4c4adb, v7
	v_add_f32_e32 v19, v19, v25
	v_fmac_f32_e32 v24, 0x3dbcf732, v15
	v_add_f32_e32 v22, v22, v26
	v_fma_f32 v25, v14, s17, -v23
	v_mul_f32_e32 v26, 0x3f4c4adb, v6
	v_fmac_f32_e32 v23, 0xbf1a4643, v14
	v_add_f32_e32 v24, v24, v28
	v_mov_b32_e32 v28, v26
	v_add_f32_e32 v23, v23, v27
	v_fma_f32 v26, v15, s17, -v26
	v_mul_f32_e32 v27, 0xbeb8f4ab, v7
	v_add_f32_e32 v25, v25, v29
	v_fmac_f32_e32 v28, 0xbf1a4643, v15
	v_add_f32_e32 v26, v26, v30
	v_fma_f32 v29, v14, s3, -v27
	v_mul_f32_e32 v30, 0xbeb8f4ab, v6
	v_fmac_f32_e32 v27, 0x3f6eb680, v14
	v_add_f32_e32 v60, v60, v99
	v_add_f32_e32 v59, v59, v63
	;; [unrolled: 1-line block ×4, first 2 shown]
	v_mov_b32_e32 v31, v30
	v_add_f32_e32 v27, v27, v32
	v_fma_f32 v30, v15, s3, -v30
	v_mul_f32_e32 v32, 0xbe3c28d5, v7
	v_add_f32_e32 v62, v62, v101
	v_add_f32_e32 v56, v56, v60
	;; [unrolled: 1-line block ×5, first 2 shown]
	v_fmac_f32_e32 v31, 0x3f6eb680, v15
	v_add_f32_e32 v30, v30, v34
	v_fma_f32 v33, v14, s18, -v32
	v_mul_f32_e32 v34, 0xbe3c28d5, v6
	v_fmac_f32_e32 v32, 0xbf7ba420, v14
	v_add_f32_e32 v58, v58, v62
	v_add_f32_e32 v52, v52, v56
	;; [unrolled: 1-line block ×5, first 2 shown]
	v_mov_b32_e32 v36, v34
	v_add_f32_e32 v32, v32, v35
	v_fma_f32 v34, v15, s18, -v34
	v_mul_f32_e32 v35, 0x3f2c7751, v7
	v_add_f32_e32 v54, v54, v58
	v_add_f32_e32 v48, v48, v52
	v_add_f32_e32 v47, v47, v51
	v_add_f32_e32 v49, v49, v53
	v_add_f32_e32 v33, v33, v37
	v_fmac_f32_e32 v36, 0xbf7ba420, v15
	v_add_f32_e32 v34, v34, v38
	v_fma_f32 v37, v14, s2, -v35
	v_mul_f32_e32 v38, 0x3f2c7751, v6
	v_fmac_f32_e32 v35, 0x3f3d2fb0, v14
	v_mul_f32_e32 v7, 0xbf763a35, v7
	v_mul_f32_e32 v6, 0xbf763a35, v6
	v_add_f32_e32 v50, v50, v54
	v_add_f32_e32 v43, v43, v48
	;; [unrolled: 1-line block ×6, first 2 shown]
	v_mov_b32_e32 v39, v38
	v_add_f32_e32 v35, v35, v40
	v_fma_f32 v38, v15, s2, -v38
	v_fma_f32 v40, v14, s16, -v7
	v_mov_b32_e32 v41, v6
	v_fmac_f32_e32 v7, 0xbe8c1d8e, v14
	v_sub_f32_e32 v48, v1, v3
	v_add_f32_e32 v46, v46, v50
	v_fmac_f32_e32 v39, 0x3f3d2fb0, v15
	v_add_f32_e32 v38, v38, v42
	v_add_f32_e32 v40, v40, v45
	v_fmac_f32_e32 v41, 0xbe8c1d8e, v15
	v_add_f32_e32 v42, v7, v5
	v_fma_f32 v5, v15, s16, -v6
	v_add_f32_e32 v45, v2, v0
	v_sub_f32_e32 v47, v0, v2
	v_mul_f32_e32 v6, 0x3eb8f4ab, v48
	v_add_f32_e32 v39, v39, v43
	v_add_f32_e32 v41, v41, v46
	;; [unrolled: 1-line block ×4, first 2 shown]
	v_mul_f32_e32 v2, 0xbe3c28d5, v48
	v_mul_f32_e32 v3, 0xbe3c28d5, v47
	v_fma_f32 v4, v45, s3, -v6
	v_fmac_f32_e32 v6, 0x3f6eb680, v45
	v_fma_f32 v0, v45, s18, -v2
	v_mov_b32_e32 v1, v3
	v_fma_f32 v3, v46, s18, -v3
	v_add_f32_e32 v6, v6, v11
	v_mul_f32_e32 v11, 0xbf06c442, v47
	v_add_f32_e32 v0, v0, v9
	v_fmac_f32_e32 v1, 0xbf7ba420, v46
	v_fmac_f32_e32 v2, 0xbf7ba420, v45
	v_add_f32_e32 v3, v3, v10
	v_mul_f32_e32 v7, 0x3eb8f4ab, v47
	v_mul_f32_e32 v10, 0xbf06c442, v48
	v_mov_b32_e32 v9, v11
	v_add_f32_e32 v1, v1, v16
	v_add_f32_e32 v2, v2, v8
	v_mov_b32_e32 v5, v7
	v_fma_f32 v8, v45, s19, -v10
	v_fmac_f32_e32 v9, 0xbf59a7d5, v46
	v_fmac_f32_e32 v10, 0xbf59a7d5, v45
	v_mul_f32_e32 v16, 0x3f2c7751, v48
	v_add_f32_e32 v4, v4, v17
	v_fmac_f32_e32 v5, 0x3f6eb680, v46
	v_fma_f32 v7, v46, s3, -v7
	v_add_f32_e32 v8, v8, v21
	v_add_f32_e32 v9, v9, v24
	;; [unrolled: 1-line block ×3, first 2 shown]
	v_fma_f32 v11, v46, s19, -v11
	v_fma_f32 v14, v45, s2, -v16
	v_mul_f32_e32 v17, 0x3f2c7751, v47
	v_mul_f32_e32 v20, 0xbf4c4adb, v48
	;; [unrolled: 1-line block ×4, first 2 shown]
	v_add_f32_e32 v5, v5, v19
	v_add_f32_e32 v7, v7, v18
	;; [unrolled: 1-line block ×4, first 2 shown]
	v_mov_b32_e32 v15, v17
	v_fmac_f32_e32 v16, 0x3f3d2fb0, v45
	v_fma_f32 v18, v45, s17, -v20
	v_mov_b32_e32 v19, v21
	v_fma_f32 v22, v45, s7, -v24
	v_mul_f32_e32 v25, 0x3f65296c, v47
	v_fmac_f32_e32 v24, 0x3ee437d1, v45
	s_movk_i32 s0, 0xffef
	v_fmac_f32_e32 v15, 0x3f3d2fb0, v46
	v_add_f32_e32 v16, v16, v23
	v_add_f32_e32 v18, v18, v29
	v_fmac_f32_e32 v19, 0xbf1a4643, v46
	v_fmac_f32_e32 v20, 0xbf1a4643, v45
	v_fma_f32 v21, v46, s17, -v21
	v_add_f32_e32 v22, v22, v33
	v_mov_b32_e32 v23, v25
	v_add_f32_e32 v24, v24, v32
	v_fma_f32 v25, v46, s7, -v25
	v_mul_f32_e32 v29, 0xbf763a35, v47
	v_mul_f32_e32 v32, 0x3f7ee86f, v48
	;; [unrolled: 1-line block ×3, first 2 shown]
	v_add_co_u32_e32 v99, vcc, s0, v122
	v_add_f32_e32 v15, v15, v28
	v_fma_f32 v17, v46, s2, -v17
	v_add_f32_e32 v19, v19, v31
	v_add_f32_e32 v20, v20, v27
	;; [unrolled: 1-line block ×4, first 2 shown]
	v_mul_f32_e32 v28, 0xbf763a35, v48
	v_mov_b32_e32 v27, v29
	v_fma_f32 v30, v45, s6, -v32
	v_mov_b32_e32 v31, v33
	v_fmac_f32_e32 v32, 0x3dbcf732, v45
	v_fma_f32 v33, v46, s6, -v33
	v_mul_lo_u16_e32 v34, 17, v122
	v_addc_co_u32_e64 v100, s[0:1], 0, -1, vcc
	v_add_f32_e32 v17, v17, v26
	v_fmac_f32_e32 v23, 0x3ee437d1, v46
	v_fma_f32 v26, v45, s16, -v28
	v_fmac_f32_e32 v27, 0xbe8c1d8e, v46
	v_fmac_f32_e32 v28, 0xbe8c1d8e, v45
	v_fma_f32 v29, v46, s16, -v29
	v_fmac_f32_e32 v31, 0x3dbcf732, v46
	v_add_f32_e32 v32, v32, v42
	v_add_f32_e32 v33, v33, v43
	v_lshl_add_u32 v123, v34, 3, v124
	v_cmp_gt_u16_e64 s[0:1], 17, v122
	v_add_f32_e32 v23, v23, v36
	v_add_f32_e32 v26, v26, v37
	;; [unrolled: 1-line block ×7, first 2 shown]
	s_barrier
	ds_write2_b64 v123, v[12:13], v[0:1] offset1:1
	ds_write2_b64 v123, v[4:5], v[8:9] offset0:2 offset1:3
	ds_write2_b64 v123, v[14:15], v[18:19] offset0:4 offset1:5
	;; [unrolled: 1-line block ×7, first 2 shown]
	ds_write_b64 v123, v[2:3] offset:128
	v_cndmask_b32_e64 v33, v100, 0, s[0:1]
	v_cndmask_b32_e64 v32, v99, v122, s[0:1]
	v_lshlrev_b64 v[0:1], 7, v[32:33]
	v_mov_b32_e32 v2, s15
	v_add_co_u32_e32 v33, vcc, s14, v0
	v_addc_co_u32_e32 v34, vcc, v2, v1, vcc
	s_waitcnt lgkmcnt(0)
	s_barrier
	global_load_dwordx4 v[24:27], v[33:34], off
	global_load_dwordx4 v[16:19], v[33:34], off offset:16
	global_load_dwordx4 v[8:11], v[33:34], off offset:32
	;; [unrolled: 1-line block ×7, first 2 shown]
	ds_read2_b64 v[33:36], v121 offset1:34
	ds_read2_b64 v[37:40], v121 offset0:68 offset1:102
	ds_read2_b64 v[45:48], v121 offset0:136 offset1:170
	;; [unrolled: 1-line block ×7, first 2 shown]
	ds_read_b64 v[41:42], v121 offset:4352
	v_cmp_lt_u16_e32 vcc, 16, v122
	s_waitcnt vmcnt(0) lgkmcnt(0)
	s_barrier
	v_mul_f32_e32 v43, v36, v25
	v_fma_f32 v43, v35, v24, -v43
	v_mul_f32_e32 v61, v35, v25
	v_mul_f32_e32 v35, v38, v27
	v_fma_f32 v111, v37, v26, -v35
	v_mul_f32_e32 v35, v40, v17
	v_fma_f32 v137, v39, v16, -v35
	;; [unrolled: 2-line block ×3, first 2 shown]
	v_mul_f32_e32 v142, v45, v19
	v_mul_f32_e32 v45, v58, v31
	v_fma_f32 v118, v57, v30, -v45
	v_mul_f32_e32 v45, v60, v21
	v_fma_f32 v129, v59, v20, -v45
	;; [unrolled: 2-line block ×3, first 2 shown]
	v_mul_f32_e32 v45, v104, v13
	v_mul_f32_e32 v35, v48, v9
	;; [unrolled: 1-line block ×3, first 2 shown]
	v_fma_f32 v143, v103, v12, -v45
	v_mul_f32_e32 v45, v106, v15
	v_fma_f32 v112, v47, v8, -v35
	v_mul_f32_e32 v35, v50, v11
	v_fmac_f32_e32 v130, v50, v10
	v_mul_f32_e32 v117, v57, v31
	v_fma_f32 v57, v105, v14, -v45
	v_mul_f32_e32 v45, v108, v5
	v_mul_f32_e32 v50, v41, v7
	v_fmac_f32_e32 v61, v36, v24
	v_mul_f32_e32 v138, v39, v17
	v_mul_f32_e32 v115, v47, v9
	v_fma_f32 v128, v49, v10, -v35
	v_mul_f32_e32 v35, v52, v1
	v_fma_f32 v49, v107, v4, -v45
	v_mul_f32_e32 v45, v42, v7
	v_fmac_f32_e32 v50, v42, v6
	v_mul_f32_e32 v136, v37, v27
	v_fmac_f32_e32 v138, v40, v16
	v_fmac_f32_e32 v115, v48, v8
	v_fma_f32 v40, v51, v0, -v35
	v_mul_f32_e32 v35, v54, v3
	v_mul_f32_e32 v37, v56, v29
	;; [unrolled: 1-line block ×3, first 2 shown]
	v_fma_f32 v48, v41, v6, -v45
	v_sub_f32_e32 v42, v61, v50
	v_fmac_f32_e32 v136, v38, v26
	v_mul_f32_e32 v39, v51, v1
	v_fma_f32 v36, v53, v2, -v35
	v_mul_f32_e32 v35, v53, v3
	v_fma_f32 v38, v55, v28, -v37
	v_mul_f32_e32 v37, v55, v29
	v_fmac_f32_e32 v117, v58, v30
	v_mul_f32_e32 v135, v59, v21
	v_fmac_f32_e32 v144, v104, v12
	v_mul_f32_e32 v103, v105, v15
	v_add_f32_e32 v41, v43, v48
	v_mul_f32_e32 v45, 0xbeb8f4ab, v42
	v_mul_f32_e32 v47, 0xbf2c7751, v42
	v_mul_f32_e32 v53, 0xbf65296c, v42
	v_mul_f32_e32 v55, 0xbf7ee86f, v42
	v_mul_f32_e32 v58, 0xbf763a35, v42
	v_mul_f32_e32 v104, 0xbf4c4adb, v42
	v_mul_f32_e32 v105, 0xbf06c442, v42
	v_mul_f32_e32 v42, 0xbe3c28d5, v42
	v_sub_f32_e32 v62, v43, v48
	v_fmac_f32_e32 v142, v46, v18
	v_fmac_f32_e32 v39, v52, v0
	;; [unrolled: 1-line block ×6, first 2 shown]
	v_fma_f32 v46, v41, s3, -v45
	v_fmac_f32_e32 v45, 0x3f6eb680, v41
	v_fma_f32 v52, v41, s2, -v47
	v_fmac_f32_e32 v47, 0x3f3d2fb0, v41
	;; [unrolled: 2-line block ×8, first 2 shown]
	v_add_f32_e32 v41, v61, v50
	v_mul_f32_e32 v110, 0xbf7ee86f, v62
	v_mov_b32_e32 v140, v110
	v_fma_f32 v145, v41, s6, -v110
	v_mul_f32_e32 v110, 0xbf763a35, v62
	v_mul_f32_e32 v127, v101, v23
	;; [unrolled: 1-line block ×3, first 2 shown]
	v_mov_b32_e32 v146, v110
	v_fma_f32 v147, v41, s16, -v110
	v_mul_f32_e32 v110, 0xbf4c4adb, v62
	v_fmac_f32_e32 v127, v102, v22
	v_fmac_f32_e32 v51, v108, v4
	v_mul_f32_e32 v63, 0xbeb8f4ab, v62
	v_mul_f32_e32 v102, 0xbf2c7751, v62
	;; [unrolled: 1-line block ×3, first 2 shown]
	v_mov_b32_e32 v148, v110
	v_fma_f32 v149, v41, s17, -v110
	v_mul_f32_e32 v110, 0xbf06c442, v62
	v_mul_f32_e32 v62, 0xbe3c28d5, v62
	v_mov_b32_e32 v101, v63
	v_mov_b32_e32 v107, v102
	;; [unrolled: 1-line block ×5, first 2 shown]
	v_fmac_f32_e32 v101, 0x3f6eb680, v41
	v_fma_f32 v63, v41, s3, -v63
	v_fmac_f32_e32 v107, 0x3f3d2fb0, v41
	v_fma_f32 v102, v41, s2, -v102
	;; [unrolled: 2-line block ×3, first 2 shown]
	v_fmac_f32_e32 v140, 0x3dbcf732, v41
	v_fmac_f32_e32 v146, 0xbe8c1d8e, v41
	;; [unrolled: 1-line block ×4, first 2 shown]
	v_fma_f32 v151, v41, s19, -v110
	v_fmac_f32_e32 v152, 0xbf7ba420, v41
	v_fma_f32 v41, v41, s18, -v62
	v_add_f32_e32 v153, v33, v43
	v_add_f32_e32 v61, v34, v61
	;; [unrolled: 1-line block ×65, first 2 shown]
	v_sub_f32_e32 v50, v111, v49
	v_add_f32_e32 v49, v136, v51
	v_sub_f32_e32 v51, v136, v51
	v_mul_f32_e32 v139, 0xbf2c7751, v51
	v_fma_f32 v56, v48, s2, -v139
	v_mul_f32_e32 v140, 0xbf2c7751, v50
	v_add_f32_e32 v104, v56, v154
	v_mov_b32_e32 v56, v140
	v_fmac_f32_e32 v56, 0x3f3d2fb0, v49
	v_sub_f32_e32 v61, v138, v103
	v_add_f32_e32 v105, v56, v155
	v_add_f32_e32 v56, v137, v57
	v_sub_f32_e32 v59, v137, v57
	v_mul_f32_e32 v145, 0xbf65296c, v61
	v_add_f32_e32 v57, v138, v103
	v_fma_f32 v103, v56, s7, -v145
	v_mul_f32_e32 v146, 0xbf65296c, v59
	v_add_f32_e32 v111, v103, v104
	v_mov_b32_e32 v103, v146
	v_fmac_f32_e32 v103, 0x3ee437d1, v57
	v_sub_f32_e32 v106, v142, v144
	v_add_f32_e32 v136, v103, v105
	v_add_f32_e32 v103, v141, v143
	v_sub_f32_e32 v105, v141, v143
	v_mul_f32_e32 v147, 0xbf7ee86f, v106
	v_fma_f32 v137, v103, s6, -v147
	v_mul_f32_e32 v148, 0xbf7ee86f, v105
	v_add_f32_e32 v104, v142, v144
	v_add_f32_e32 v137, v137, v111
	v_mov_b32_e32 v111, v148
	v_fmac_f32_e32 v111, 0x3dbcf732, v104
	v_add_f32_e32 v136, v111, v136
	v_add_f32_e32 v111, v112, v113
	v_sub_f32_e32 v113, v112, v113
	v_add_f32_e32 v112, v115, v127
	v_sub_f32_e32 v115, v115, v127
	v_mul_f32_e32 v149, 0xbf763a35, v115
	v_fma_f32 v127, v111, s16, -v149
	v_mul_f32_e32 v150, 0xbf763a35, v113
	v_add_f32_e32 v137, v127, v137
	v_mov_b32_e32 v127, v150
	v_fmac_f32_e32 v127, 0xbe8c1d8e, v112
	v_add_f32_e32 v136, v127, v136
	v_add_f32_e32 v127, v128, v129
	v_sub_f32_e32 v129, v128, v129
	v_add_f32_e32 v128, v130, v135
	v_sub_f32_e32 v130, v130, v135
	v_mul_f32_e32 v151, 0xbf4c4adb, v130
	v_fma_f32 v135, v127, s17, -v151
	v_mul_f32_e32 v152, 0xbf4c4adb, v129
	v_add_f32_e32 v141, v135, v137
	v_mov_b32_e32 v135, v152
	v_fmac_f32_e32 v135, 0xbf1a4643, v128
	v_sub_f32_e32 v137, v40, v118
	v_sub_f32_e32 v138, v39, v117
	v_add_f32_e32 v142, v135, v136
	v_add_f32_e32 v135, v40, v118
	;; [unrolled: 1-line block ×3, first 2 shown]
	v_mul_f32_e32 v39, 0xbf06c442, v138
	v_mul_f32_e32 v117, 0xbf06c442, v137
	v_fma_f32 v40, v135, s19, -v39
	v_mov_b32_e32 v118, v117
	v_sub_f32_e32 v143, v36, v38
	v_add_f32_e32 v40, v40, v141
	v_fmac_f32_e32 v118, 0xbf59a7d5, v136
	v_add_f32_e32 v141, v36, v38
	v_sub_f32_e32 v144, v35, v37
	v_mul_f32_e32 v38, 0xbe3c28d5, v143
	v_add_f32_e32 v118, v118, v142
	v_add_f32_e32 v142, v35, v37
	v_mul_f32_e32 v37, 0xbe3c28d5, v144
	v_mov_b32_e32 v36, v38
	v_fma_f32 v35, v141, s18, -v37
	v_fmac_f32_e32 v36, 0xbf7ba420, v142
	v_fmac_f32_e32 v139, 0x3f3d2fb0, v48
	v_add_f32_e32 v35, v35, v40
	v_add_f32_e32 v36, v36, v118
	;; [unrolled: 1-line block ×3, first 2 shown]
	v_fma_f32 v118, v49, s2, -v140
	v_fmac_f32_e32 v145, 0x3ee437d1, v56
	v_add_f32_e32 v118, v118, v133
	v_add_f32_e32 v40, v145, v40
	v_fma_f32 v133, v57, s7, -v146
	v_fmac_f32_e32 v147, 0x3dbcf732, v103
	v_add_f32_e32 v118, v133, v118
	v_add_f32_e32 v40, v147, v40
	;; [unrolled: 4-line block ×6, first 2 shown]
	v_fma_f32 v37, v142, s18, -v38
	v_add_f32_e32 v118, v37, v40
	v_mul_f32_e32 v40, 0xbf7ee86f, v50
	v_mov_b32_e32 v38, v40
	v_mul_f32_e32 v39, 0xbf7ee86f, v51
	v_fmac_f32_e32 v38, 0x3dbcf732, v49
	v_fma_f32 v37, v48, s6, -v39
	v_add_f32_e32 v38, v38, v131
	v_mul_f32_e32 v131, 0xbf4c4adb, v61
	v_add_f32_e32 v37, v37, v132
	v_fma_f32 v132, v56, s17, -v131
	v_add_f32_e32 v37, v132, v37
	v_mul_f32_e32 v132, 0xbf4c4adb, v59
	v_mov_b32_e32 v133, v132
	v_fmac_f32_e32 v133, 0xbf1a4643, v57
	v_add_f32_e32 v38, v133, v38
	v_mul_f32_e32 v133, 0xbe3c28d5, v106
	v_fma_f32 v134, v103, s18, -v133
	v_add_f32_e32 v37, v134, v37
	v_mul_f32_e32 v134, 0xbe3c28d5, v105
	v_mov_b32_e32 v139, v134
	v_fmac_f32_e32 v139, 0xbf7ba420, v104
	v_add_f32_e32 v38, v139, v38
	v_mul_f32_e32 v139, 0x3f06c442, v115
	;; [unrolled: 7-line block ×4, first 2 shown]
	v_fma_f32 v148, v135, s7, -v147
	v_add_f32_e32 v37, v148, v37
	v_mul_f32_e32 v148, 0x3f65296c, v137
	v_fma_f32 v40, v49, s6, -v40
	v_mov_b32_e32 v149, v148
	v_add_f32_e32 v40, v40, v125
	v_fma_f32 v125, v57, s17, -v132
	v_fmac_f32_e32 v149, 0x3ee437d1, v136
	v_add_f32_e32 v40, v125, v40
	v_fma_f32 v125, v104, s18, -v134
	v_add_f32_e32 v38, v149, v38
	v_mul_f32_e32 v149, 0x3eb8f4ab, v144
	v_add_f32_e32 v40, v125, v40
	v_fma_f32 v125, v112, s19, -v140
	v_fma_f32 v150, v141, s3, -v149
	v_add_f32_e32 v40, v125, v40
	v_fma_f32 v125, v128, s16, -v146
	v_add_f32_e32 v37, v150, v37
	v_mul_f32_e32 v150, 0x3eb8f4ab, v143
	v_add_f32_e32 v40, v125, v40
	v_fma_f32 v125, v136, s7, -v148
	v_add_f32_e32 v40, v125, v40
	v_fma_f32 v125, v142, s3, -v150
	v_fmac_f32_e32 v39, 0x3dbcf732, v48
	v_add_f32_e32 v40, v125, v40
	v_mul_f32_e32 v125, 0xbf4c4adb, v51
	v_add_f32_e32 v39, v39, v126
	v_fma_f32 v126, v48, s17, -v125
	v_fmac_f32_e32 v131, 0xbf1a4643, v56
	v_add_f32_e32 v120, v126, v120
	v_mul_f32_e32 v126, 0xbf4c4adb, v50
	v_add_f32_e32 v39, v131, v39
	v_mov_b32_e32 v131, v126
	v_fmac_f32_e32 v131, 0xbf1a4643, v49
	v_add_f32_e32 v119, v131, v119
	v_mul_f32_e32 v131, 0x3e3c28d5, v61
	v_fma_f32 v132, v56, s18, -v131
	v_fmac_f32_e32 v133, 0xbf7ba420, v103
	v_add_f32_e32 v120, v132, v120
	v_mul_f32_e32 v132, 0x3e3c28d5, v59
	v_add_f32_e32 v39, v133, v39
	v_mov_b32_e32 v133, v132
	v_fmac_f32_e32 v133, 0xbf7ba420, v57
	v_add_f32_e32 v119, v133, v119
	v_mul_f32_e32 v133, 0x3f763a35, v106
	;; [unrolled: 9-line block ×4, first 2 shown]
	v_fma_f32 v146, v127, s3, -v145
	v_fmac_f32_e32 v147, 0x3ee437d1, v135
	v_add_f32_e32 v120, v146, v120
	v_mul_f32_e32 v146, 0xbeb8f4ab, v129
	v_add_f32_e32 v39, v147, v39
	v_mov_b32_e32 v147, v146
	v_fmac_f32_e32 v147, 0x3f6eb680, v128
	v_fmac_f32_e32 v125, 0xbf1a4643, v48
	v_add_f32_e32 v119, v147, v119
	v_mul_f32_e32 v147, 0xbf7ee86f, v138
	v_add_f32_e32 v116, v125, v116
	v_fma_f32 v125, v49, s17, -v126
	v_fmac_f32_e32 v131, 0xbf7ba420, v56
	v_fma_f32 v148, v135, s6, -v147
	v_add_f32_e32 v114, v125, v114
	v_add_f32_e32 v116, v131, v116
	v_fma_f32 v125, v57, s18, -v132
	v_fmac_f32_e32 v133, 0xbe8c1d8e, v103
	v_fmac_f32_e32 v149, 0x3f6eb680, v141
	v_add_f32_e32 v120, v148, v120
	v_mul_f32_e32 v148, 0xbf7ee86f, v137
	v_add_f32_e32 v114, v125, v114
	v_add_f32_e32 v116, v133, v116
	v_fma_f32 v125, v104, s16, -v134
	v_fmac_f32_e32 v139, 0x3f3d2fb0, v111
	v_mov_b32_e32 v151, v150
	v_add_f32_e32 v39, v149, v39
	v_mov_b32_e32 v149, v148
	v_add_f32_e32 v114, v125, v114
	v_add_f32_e32 v116, v139, v116
	v_fma_f32 v125, v112, s2, -v140
	v_fmac_f32_e32 v145, 0x3f6eb680, v127
	v_fmac_f32_e32 v151, 0x3f6eb680, v142
	;; [unrolled: 1-line block ×3, first 2 shown]
	v_mul_f32_e32 v150, 0xbf06c442, v144
	v_add_f32_e32 v114, v125, v114
	v_add_f32_e32 v116, v145, v116
	v_fma_f32 v125, v128, s3, -v146
	v_fmac_f32_e32 v147, 0x3dbcf732, v135
	v_add_f32_e32 v38, v151, v38
	v_add_f32_e32 v149, v149, v119
	v_fma_f32 v119, v141, s19, -v150
	v_mul_f32_e32 v151, 0xbf06c442, v143
	v_add_f32_e32 v114, v125, v114
	v_add_f32_e32 v116, v147, v116
	v_fma_f32 v125, v136, s6, -v148
	v_fmac_f32_e32 v150, 0xbf59a7d5, v141
	v_add_f32_e32 v114, v125, v114
	v_add_f32_e32 v131, v150, v116
	v_fma_f32 v116, v142, s19, -v151
	v_add_f32_e32 v132, v116, v114
	v_mul_f32_e32 v114, 0xbe3c28d5, v51
	v_fma_f32 v116, v48, s18, -v114
	v_add_f32_e32 v110, v116, v110
	v_mul_f32_e32 v116, 0xbe3c28d5, v50
	v_mov_b32_e32 v125, v116
	v_fmac_f32_e32 v125, 0xbf7ba420, v49
	v_add_f32_e32 v109, v125, v109
	v_mul_f32_e32 v125, 0x3f763a35, v61
	v_fma_f32 v126, v56, s16, -v125
	v_add_f32_e32 v110, v126, v110
	v_mul_f32_e32 v126, 0x3f763a35, v59
	v_mov_b32_e32 v133, v126
	v_fmac_f32_e32 v133, 0xbe8c1d8e, v57
	;; [unrolled: 7-line block ×5, first 2 shown]
	v_fmac_f32_e32 v114, 0xbf7ba420, v48
	v_add_f32_e32 v109, v147, v109
	v_mul_f32_e32 v147, 0x3f4c4adb, v138
	v_add_f32_e32 v108, v114, v108
	v_fma_f32 v114, v49, s18, -v116
	v_fmac_f32_e32 v125, 0xbe8c1d8e, v56
	v_add_f32_e32 v119, v119, v120
	v_mov_b32_e32 v120, v151
	v_fma_f32 v148, v135, s17, -v147
	v_add_f32_e32 v107, v114, v107
	v_add_f32_e32 v108, v125, v108
	v_fma_f32 v114, v57, s16, -v126
	v_fmac_f32_e32 v133, 0x3f6eb680, v103
	v_fmac_f32_e32 v120, 0xbf59a7d5, v142
	v_add_f32_e32 v110, v148, v110
	v_mul_f32_e32 v148, 0x3f4c4adb, v137
	v_add_f32_e32 v107, v114, v107
	v_add_f32_e32 v108, v133, v108
	v_fma_f32 v114, v104, s3, -v134
	v_fmac_f32_e32 v139, 0x3ee437d1, v111
	v_add_f32_e32 v120, v120, v149
	v_mov_b32_e32 v149, v148
	v_add_f32_e32 v107, v114, v107
	v_add_f32_e32 v108, v139, v108
	v_fma_f32 v114, v112, s7, -v140
	v_fmac_f32_e32 v145, 0xbf59a7d5, v127
	v_fmac_f32_e32 v149, 0xbf1a4643, v136
	v_mul_f32_e32 v150, 0x3f2c7751, v144
	v_add_f32_e32 v107, v114, v107
	v_add_f32_e32 v108, v145, v108
	v_fma_f32 v114, v128, s19, -v146
	v_fmac_f32_e32 v147, 0xbf1a4643, v135
	v_add_f32_e32 v149, v149, v109
	v_fma_f32 v109, v141, s2, -v150
	v_mul_f32_e32 v151, 0x3f2c7751, v143
	v_add_f32_e32 v107, v114, v107
	v_add_f32_e32 v108, v147, v108
	v_fma_f32 v114, v136, s17, -v148
	v_fmac_f32_e32 v150, 0x3f3d2fb0, v141
	v_add_f32_e32 v114, v114, v107
	v_add_f32_e32 v107, v150, v108
	v_fma_f32 v108, v142, s2, -v151
	v_add_f32_e32 v108, v108, v114
	v_mul_f32_e32 v114, 0x3f06c442, v51
	v_fma_f32 v116, v48, s19, -v114
	v_add_f32_e32 v102, v116, v102
	v_mul_f32_e32 v116, 0x3f06c442, v50
	v_mov_b32_e32 v125, v116
	v_fmac_f32_e32 v125, 0xbf59a7d5, v49
	v_add_f32_e32 v101, v125, v101
	v_mul_f32_e32 v125, 0x3f2c7751, v61
	v_fma_f32 v126, v56, s2, -v125
	v_add_f32_e32 v102, v126, v102
	v_mul_f32_e32 v126, 0x3f2c7751, v59
	v_mov_b32_e32 v133, v126
	v_fmac_f32_e32 v133, 0x3f3d2fb0, v57
	;; [unrolled: 7-line block ×5, first 2 shown]
	v_fmac_f32_e32 v114, 0xbf59a7d5, v48
	v_add_f32_e32 v101, v147, v101
	v_mul_f32_e32 v147, 0xbeb8f4ab, v138
	v_add_f32_e32 v63, v114, v63
	v_fma_f32 v114, v49, s19, -v116
	v_fmac_f32_e32 v125, 0x3f3d2fb0, v56
	v_add_f32_e32 v109, v109, v110
	v_mov_b32_e32 v110, v151
	v_fma_f32 v148, v135, s3, -v147
	v_add_f32_e32 v62, v114, v62
	v_add_f32_e32 v63, v125, v63
	v_fma_f32 v114, v57, s2, -v126
	v_fmac_f32_e32 v133, 0x3ee437d1, v103
	v_fmac_f32_e32 v110, 0x3f3d2fb0, v142
	v_add_f32_e32 v102, v148, v102
	v_mul_f32_e32 v148, 0xbeb8f4ab, v137
	v_add_f32_e32 v62, v114, v62
	v_add_f32_e32 v63, v133, v63
	v_fma_f32 v114, v104, s7, -v134
	v_fmac_f32_e32 v139, 0xbf7ba420, v111
	v_add_f32_e32 v110, v110, v149
	v_mov_b32_e32 v149, v148
	v_add_f32_e32 v62, v114, v62
	v_add_f32_e32 v63, v139, v63
	v_fma_f32 v114, v112, s18, -v140
	v_fmac_f32_e32 v145, 0x3dbcf732, v127
	v_fmac_f32_e32 v149, 0x3f6eb680, v136
	v_mul_f32_e32 v150, 0xbf4c4adb, v144
	v_add_f32_e32 v62, v114, v62
	v_add_f32_e32 v63, v145, v63
	v_fma_f32 v114, v128, s6, -v146
	v_fmac_f32_e32 v147, 0x3f6eb680, v135
	v_add_f32_e32 v149, v149, v101
	v_fma_f32 v101, v141, s17, -v150
	v_mul_f32_e32 v151, 0xbf4c4adb, v143
	v_add_f32_e32 v62, v114, v62
	v_add_f32_e32 v63, v147, v63
	v_fma_f32 v114, v136, s3, -v148
	v_fmac_f32_e32 v150, 0xbf1a4643, v141
	v_add_f32_e32 v114, v114, v62
	v_add_f32_e32 v62, v150, v63
	v_fma_f32 v63, v142, s17, -v151
	v_add_f32_e32 v63, v63, v114
	v_mul_f32_e32 v114, 0x3f763a35, v51
	v_fma_f32 v116, v48, s16, -v114
	v_add_f32_e32 v60, v116, v60
	v_mul_f32_e32 v116, 0x3f763a35, v50
	v_mov_b32_e32 v125, v116
	v_fmac_f32_e32 v125, 0xbe8c1d8e, v49
	v_add_f32_e32 v58, v125, v58
	v_mul_f32_e32 v125, 0xbeb8f4ab, v61
	v_fma_f32 v126, v56, s3, -v125
	v_add_f32_e32 v60, v126, v60
	v_mul_f32_e32 v126, 0xbeb8f4ab, v59
	v_mov_b32_e32 v133, v126
	v_fmac_f32_e32 v133, 0x3f6eb680, v57
	v_mul_f32_e32 v139, 0xbf06c442, v106
	v_add_f32_e32 v58, v133, v58
	v_fma_f32 v133, v103, s19, -v139
	v_mul_f32_e32 v140, 0xbf06c442, v105
	v_add_f32_e32 v60, v133, v60
	v_mov_b32_e32 v133, v140
	v_fmac_f32_e32 v133, 0xbf59a7d5, v104
	v_mul_f32_e32 v145, 0x3f7ee86f, v115
	v_add_f32_e32 v58, v133, v58
	v_fma_f32 v133, v111, s6, -v145
	v_mul_f32_e32 v146, 0x3f7ee86f, v113
	v_add_f32_e32 v60, v133, v60
	v_mov_b32_e32 v133, v146
	v_fmac_f32_e32 v133, 0x3dbcf732, v112
	v_mul_f32_e32 v147, 0xbf2c7751, v130
	v_add_f32_e32 v101, v101, v102
	v_mov_b32_e32 v102, v151
	v_add_f32_e32 v58, v133, v58
	v_fma_f32 v133, v127, s2, -v147
	v_mul_f32_e32 v148, 0xbf2c7751, v129
	v_fmac_f32_e32 v102, 0xbf1a4643, v142
	v_add_f32_e32 v60, v133, v60
	v_mov_b32_e32 v133, v148
	v_add_f32_e32 v102, v102, v149
	v_fmac_f32_e32 v133, 0x3f3d2fb0, v128
	v_mul_f32_e32 v149, 0xbe3c28d5, v138
	v_add_f32_e32 v58, v133, v58
	v_fma_f32 v133, v135, s18, -v149
	v_mul_f32_e32 v150, 0xbe3c28d5, v137
	v_add_f32_e32 v60, v133, v60
	v_mov_b32_e32 v133, v150
	v_fmac_f32_e32 v133, 0xbf7ba420, v136
	v_mul_f32_e32 v151, 0x3f65296c, v144
	v_add_f32_e32 v58, v133, v58
	v_fma_f32 v133, v141, s7, -v151
	v_add_f32_e32 v133, v133, v60
	v_mul_f32_e32 v60, 0x3f65296c, v143
	v_mov_b32_e32 v134, v60
	v_fmac_f32_e32 v134, 0x3ee437d1, v142
	v_fmac_f32_e32 v114, 0xbe8c1d8e, v48
	v_add_f32_e32 v134, v134, v58
	v_add_f32_e32 v55, v114, v55
	v_fma_f32 v58, v49, s16, -v116
	v_fmac_f32_e32 v125, 0x3f6eb680, v56
	v_add_f32_e32 v54, v58, v54
	v_add_f32_e32 v55, v125, v55
	v_fma_f32 v58, v57, s3, -v126
	v_fmac_f32_e32 v139, 0xbf59a7d5, v103
	v_add_f32_e32 v54, v58, v54
	v_add_f32_e32 v55, v139, v55
	v_fma_f32 v58, v104, s19, -v140
	v_fmac_f32_e32 v145, 0x3dbcf732, v111
	v_add_f32_e32 v54, v58, v54
	v_add_f32_e32 v55, v145, v55
	v_fma_f32 v58, v112, s6, -v146
	v_fmac_f32_e32 v147, 0x3f3d2fb0, v127
	v_add_f32_e32 v54, v58, v54
	v_add_f32_e32 v55, v147, v55
	v_fma_f32 v58, v128, s2, -v148
	v_fmac_f32_e32 v149, 0xbf7ba420, v135
	v_add_f32_e32 v54, v58, v54
	v_add_f32_e32 v55, v149, v55
	v_fma_f32 v58, v136, s18, -v150
	v_fmac_f32_e32 v151, 0x3ee437d1, v141
	v_add_f32_e32 v58, v58, v54
	v_add_f32_e32 v54, v151, v55
	v_fma_f32 v55, v142, s7, -v60
	v_add_f32_e32 v55, v55, v58
	v_mul_f32_e32 v58, 0x3f65296c, v51
	v_fma_f32 v60, v48, s7, -v58
	v_add_f32_e32 v53, v60, v53
	v_mul_f32_e32 v60, 0x3f65296c, v50
	v_mov_b32_e32 v114, v60
	v_fmac_f32_e32 v114, 0x3ee437d1, v49
	v_add_f32_e32 v52, v114, v52
	v_mul_f32_e32 v114, 0xbf7ee86f, v61
	v_fmac_f32_e32 v58, 0x3ee437d1, v48
	v_fma_f32 v116, v56, s6, -v114
	v_add_f32_e32 v47, v58, v47
	v_fma_f32 v58, v49, s7, -v60
	v_mul_f32_e32 v51, 0x3eb8f4ab, v51
	v_mul_f32_e32 v50, 0x3eb8f4ab, v50
	v_add_f32_e32 v53, v116, v53
	v_mul_f32_e32 v116, 0xbf7ee86f, v59
	v_add_f32_e32 v46, v58, v46
	v_fma_f32 v58, v48, s3, -v51
	v_fmac_f32_e32 v51, 0x3f6eb680, v48
	v_fma_f32 v48, v49, s3, -v50
	v_mov_b32_e32 v125, v116
	v_add_f32_e32 v41, v48, v41
	v_fma_f32 v48, v57, s6, -v116
	v_fmac_f32_e32 v125, 0x3dbcf732, v57
	v_add_f32_e32 v45, v58, v45
	v_mov_b32_e32 v58, v50
	v_add_f32_e32 v46, v48, v46
	v_mul_f32_e32 v48, 0xbf06c442, v61
	v_add_f32_e32 v52, v125, v52
	v_mul_f32_e32 v125, 0x3f4c4adb, v106
	v_fmac_f32_e32 v58, 0x3f6eb680, v49
	v_fma_f32 v49, v56, s19, -v48
	v_fma_f32 v126, v103, s17, -v125
	v_add_f32_e32 v42, v51, v42
	v_add_f32_e32 v45, v49, v45
	v_mul_f32_e32 v49, 0xbf06c442, v59
	v_fmac_f32_e32 v48, 0xbf59a7d5, v56
	v_add_f32_e32 v53, v126, v53
	v_mul_f32_e32 v126, 0x3f4c4adb, v105
	v_add_f32_e32 v42, v48, v42
	v_fma_f32 v48, v57, s19, -v49
	v_mov_b32_e32 v139, v126
	v_add_f32_e32 v41, v48, v41
	v_fma_f32 v48, v104, s17, -v126
	v_fmac_f32_e32 v139, 0xbf1a4643, v104
	v_add_f32_e32 v46, v48, v46
	v_mul_f32_e32 v48, 0x3f2c7751, v106
	v_add_f32_e32 v52, v139, v52
	v_mul_f32_e32 v139, 0xbeb8f4ab, v115
	v_mov_b32_e32 v50, v49
	v_fma_f32 v49, v103, s2, -v48
	v_fma_f32 v140, v111, s3, -v139
	v_add_f32_e32 v45, v49, v45
	v_mul_f32_e32 v49, 0x3f2c7751, v105
	v_fmac_f32_e32 v48, 0x3f3d2fb0, v103
	v_add_f32_e32 v53, v140, v53
	v_mul_f32_e32 v140, 0xbeb8f4ab, v113
	v_add_f32_e32 v42, v48, v42
	v_fma_f32 v48, v104, s2, -v49
	v_mov_b32_e32 v145, v140
	v_add_f32_e32 v41, v48, v41
	v_fma_f32 v48, v112, s3, -v140
	v_fmac_f32_e32 v145, 0x3f6eb680, v112
	v_add_f32_e32 v43, v58, v43
	v_fmac_f32_e32 v50, 0xbf59a7d5, v57
	v_add_f32_e32 v46, v48, v46
	v_mul_f32_e32 v48, 0xbf4c4adb, v115
	v_add_f32_e32 v52, v145, v52
	v_mul_f32_e32 v145, 0xbe3c28d5, v130
	v_add_f32_e32 v43, v50, v43
	v_mov_b32_e32 v50, v49
	v_fma_f32 v49, v111, s17, -v48
	v_fma_f32 v146, v127, s18, -v145
	v_add_f32_e32 v45, v49, v45
	v_mul_f32_e32 v49, 0xbf4c4adb, v113
	v_fmac_f32_e32 v48, 0xbf1a4643, v111
	v_add_f32_e32 v53, v146, v53
	v_mul_f32_e32 v146, 0xbe3c28d5, v129
	v_add_f32_e32 v42, v48, v42
	v_fma_f32 v48, v112, s17, -v49
	v_mov_b32_e32 v147, v146
	v_add_f32_e32 v41, v48, v41
	v_fma_f32 v48, v128, s18, -v146
	v_fmac_f32_e32 v147, 0xbf7ba420, v128
	v_fmac_f32_e32 v50, 0x3f3d2fb0, v104
	v_add_f32_e32 v46, v48, v46
	v_mul_f32_e32 v48, 0x3f65296c, v130
	v_add_f32_e32 v52, v147, v52
	v_mul_f32_e32 v147, 0x3f2c7751, v138
	v_add_f32_e32 v43, v50, v43
	v_mov_b32_e32 v50, v49
	v_fma_f32 v49, v127, s7, -v48
	v_fma_f32 v148, v135, s2, -v147
	v_add_f32_e32 v45, v49, v45
	v_mul_f32_e32 v49, 0x3f65296c, v129
	v_fmac_f32_e32 v48, 0x3ee437d1, v127
	v_add_f32_e32 v53, v148, v53
	v_mul_f32_e32 v148, 0x3f2c7751, v137
	v_fmac_f32_e32 v114, 0x3dbcf732, v56
	v_add_f32_e32 v42, v48, v42
	v_fma_f32 v48, v128, s7, -v49
	v_add_f32_e32 v47, v114, v47
	v_fmac_f32_e32 v125, 0xbf1a4643, v103
	v_add_f32_e32 v41, v48, v41
	v_fma_f32 v48, v136, s2, -v148
	v_add_f32_e32 v47, v125, v47
	v_fmac_f32_e32 v139, 0x3f6eb680, v111
	v_fmac_f32_e32 v50, 0xbf1a4643, v112
	v_add_f32_e32 v46, v48, v46
	v_mul_f32_e32 v48, 0xbf763a35, v138
	v_mov_b32_e32 v149, v148
	v_add_f32_e32 v47, v139, v47
	v_add_f32_e32 v43, v50, v43
	v_fmac_f32_e32 v145, 0xbf7ba420, v127
	v_mov_b32_e32 v50, v49
	v_fma_f32 v49, v135, s16, -v48
	v_fmac_f32_e32 v149, 0x3f3d2fb0, v136
	v_mul_f32_e32 v150, 0xbf763a35, v144
	v_add_f32_e32 v47, v145, v47
	v_fmac_f32_e32 v50, 0x3ee437d1, v128
	v_fmac_f32_e32 v147, 0x3f3d2fb0, v135
	v_add_f32_e32 v45, v49, v45
	v_mul_f32_e32 v49, 0xbf763a35, v137
	v_fmac_f32_e32 v48, 0xbe8c1d8e, v135
	v_add_f32_e32 v149, v149, v52
	v_fma_f32 v52, v141, s16, -v150
	v_mul_f32_e32 v151, 0xbf763a35, v143
	v_add_f32_e32 v43, v50, v43
	v_add_f32_e32 v47, v147, v47
	v_mov_b32_e32 v50, v49
	v_add_f32_e32 v48, v48, v42
	v_fma_f32 v42, v136, s16, -v49
	v_fmac_f32_e32 v150, 0xbe8c1d8e, v141
	v_fmac_f32_e32 v50, 0xbe8c1d8e, v136
	v_add_f32_e32 v49, v42, v41
	v_add_f32_e32 v41, v150, v47
	v_fma_f32 v42, v142, s16, -v151
	v_mul_f32_e32 v47, 0x3f7ee86f, v144
	v_add_f32_e32 v43, v50, v43
	v_add_f32_e32 v42, v42, v46
	v_fma_f32 v46, v141, s6, -v47
	v_mul_f32_e32 v50, 0x3f7ee86f, v143
	v_add_f32_e32 v45, v46, v45
	v_mov_b32_e32 v46, v50
	v_fmac_f32_e32 v46, 0x3dbcf732, v142
	v_add_f32_e32 v46, v46, v43
	v_fmac_f32_e32 v47, 0x3dbcf732, v141
	v_fma_f32 v43, v142, s6, -v50
	v_add_f32_e32 v47, v47, v48
	v_add_f32_e32 v48, v43, v49
	v_mov_b32_e32 v43, 0x121
	v_add_f32_e32 v52, v52, v53
	v_mov_b32_e32 v53, v151
	v_cndmask_b32_e32 v43, 0, v43, vcc
	v_fmac_f32_e32 v53, 0xbe8c1d8e, v142
	v_add_u32_e32 v32, v32, v43
	v_add_f32_e32 v53, v53, v149
	v_lshl_add_u32 v125, v32, 3, v124
	ds_write2_b64 v125, v[33:34], v[35:36] offset1:17
	ds_write2_b64 v125, v[37:38], v[119:120] offset0:34 offset1:51
	ds_write2_b64 v125, v[109:110], v[101:102] offset0:68 offset1:85
	;; [unrolled: 1-line block ×7, first 2 shown]
	ds_write_b64 v125, v[117:118] offset:2176
	s_waitcnt lgkmcnt(0)
	s_barrier
	ds_read2_b64 v[32:35], v121 offset1:34
	ds_read2_b64 v[48:51], v44 offset0:33 offset1:67
	ds_read2_b64 v[36:39], v121 offset0:68 offset1:102
	;; [unrolled: 1-line block ×6, first 2 shown]
	v_add_u32_e32 v126, 0xc00, v121
	s_load_dwordx2 s[2:3], s[4:5], 0x38
	ds_read2_b64 v[60:63], v126 offset0:109 offset1:143
                                        ; implicit-def: $vgpr119
	s_and_saveexec_b64 s[4:5], s[0:1]
	s_cbranch_execz .LBB0_3
; %bb.2:
	ds_read_b64 v[117:118], v121 offset:2176
	ds_read_b64 v[119:120], v121 offset:4488
	v_add_co_u32_e32 v99, vcc, 0x110, v122
	v_addc_co_u32_e64 v100, s[6:7], 0, 0, vcc
.LBB0_3:
	s_or_b64 exec, exec, s[4:5]
	v_lshlrev_b64 v[99:100], 3, v[99:100]
	v_lshlrev_b32_e32 v127, 3, v122
	v_mov_b32_e32 v128, s15
	v_add_co_u32_e32 v99, vcc, s14, v99
	global_load_dwordx2 v[101:102], v127, s[14:15] offset:2176
	global_load_dwordx2 v[103:104], v127, s[14:15] offset:2448
	global_load_dwordx2 v[105:106], v127, s[14:15] offset:2720
	global_load_dwordx2 v[107:108], v127, s[14:15] offset:2992
	global_load_dwordx2 v[109:110], v127, s[14:15] offset:3264
	global_load_dwordx2 v[111:112], v127, s[14:15] offset:3536
	global_load_dwordx2 v[113:114], v127, s[14:15] offset:3808
	global_load_dwordx2 v[115:116], v127, s[14:15] offset:4080
	v_addc_co_u32_e32 v100, vcc, v128, v100, vcc
	global_load_dwordx2 v[99:100], v[99:100], off offset:2176
	s_waitcnt vmcnt(8) lgkmcnt(0)
	v_mul_f32_e32 v128, v49, v102
	s_waitcnt vmcnt(7)
	v_mul_f32_e32 v130, v51, v104
	s_waitcnt vmcnt(6)
	;; [unrolled: 2-line block ×6, first 2 shown]
	v_mul_f32_e32 v140, v61, v114
	v_mul_f32_e32 v141, v60, v114
	s_waitcnt vmcnt(1)
	v_mul_f32_e32 v142, v63, v116
	v_mul_f32_e32 v143, v62, v116
	;; [unrolled: 1-line block ×8, first 2 shown]
	v_fma_f32 v48, v48, v101, -v128
	v_fma_f32 v128, v50, v103, -v130
	;; [unrolled: 1-line block ×7, first 2 shown]
	v_fmac_f32_e32 v141, v61, v113
	v_fma_f32 v140, v62, v115, -v142
	v_fmac_f32_e32 v143, v63, v115
	s_waitcnt vmcnt(0)
	v_mul_f32_e32 v63, v120, v100
	v_mul_f32_e32 v142, v119, v100
	v_fmac_f32_e32 v129, v49, v101
	v_fmac_f32_e32 v131, v51, v103
	;; [unrolled: 1-line block ×6, first 2 shown]
	v_sub_f32_e32 v49, v32, v48
	v_sub_f32_e32 v61, v44, v138
	;; [unrolled: 1-line block ×3, first 2 shown]
	v_fma_f32 v48, v119, v99, -v63
	v_fmac_f32_e32 v142, v120, v99
	v_sub_f32_e32 v50, v33, v129
	v_sub_f32_e32 v51, v34, v128
	;; [unrolled: 1-line block ×13, first 2 shown]
	v_fma_f32 v119, v44, 2.0, -v61
	v_fma_f32 v120, v45, 2.0, -v62
	v_sub_f32_e32 v44, v117, v48
	v_sub_f32_e32 v45, v118, v142
	v_lshl_add_u32 v48, v122, 3, v124
	v_fma_f32 v32, v32, 2.0, -v49
	v_fma_f32 v33, v33, 2.0, -v50
	;; [unrolled: 1-line block ×14, first 2 shown]
	ds_write_b64 v48, v[49:50] offset:2312
	ds_write2_b64 v121, v[32:33], v[34:35] offset1:34
	ds_write_b64 v48, v[51:52] offset:2584
	ds_write_b64 v121, v[36:37] offset:544
	ds_write_b64 v48, v[53:54] offset:2856
	ds_write_b64 v121, v[38:39] offset:816
	ds_write_b64 v48, v[55:56] offset:3128
	ds_write_b64 v121, v[40:41] offset:1088
	ds_write_b64 v48, v[57:58] offset:3400
	ds_write_b64 v121, v[42:43] offset:1360
	ds_write_b64 v48, v[59:60] offset:3672
	ds_write2_b64 v121, v[119:120], v[46:47] offset0:204 offset1:238
	ds_write2_b64 v126, v[61:62], v[128:129] offset0:109 offset1:143
	s_and_saveexec_b64 s[4:5], s[0:1]
	s_cbranch_execz .LBB0_5
; %bb.4:
	v_fma_f32 v33, v118, 2.0, -v45
	v_fma_f32 v32, v117, 2.0, -v44
	ds_write_b64 v121, v[32:33] offset:2176
	ds_write_b64 v48, v[44:45] offset:4488
.LBB0_5:
	s_or_b64 exec, exec, s[4:5]
	v_mov_b32_e32 v32, s13
	v_add_co_u32_e32 v49, vcc, s12, v127
	v_addc_co_u32_e32 v50, vcc, 0, v32, vcc
	v_add_co_u32_e32 v46, vcc, 0x1210, v49
	v_addc_co_u32_e32 v47, vcc, 0, v50, vcc
	s_waitcnt lgkmcnt(0)
	s_barrier
	global_load_dwordx2 v[58:59], v[46:47], off offset:272
	global_load_dwordx2 v[60:61], v[46:47], off offset:544
	;; [unrolled: 1-line block ×8, first 2 shown]
	v_add_co_u32_e32 v32, vcc, 0x1000, v49
	v_addc_co_u32_e32 v33, vcc, 0, v50, vcc
	global_load_dwordx2 v[132:133], v[46:47], off offset:2448
	global_load_dwordx2 v[134:135], v[32:33], off offset:528
	;; [unrolled: 1-line block ×7, first 2 shown]
	s_movk_i32 s4, 0x2000
	v_add_co_u32_e32 v49, vcc, s4, v49
	ds_read2_b64 v[32:35], v121 offset1:34
	ds_read2_b64 v[36:39], v121 offset0:68 offset1:102
	ds_read2_b64 v[40:43], v121 offset0:136 offset1:170
	global_load_dwordx2 v[46:47], v[46:47], off offset:4080
	v_addc_co_u32_e32 v50, vcc, 0, v50, vcc
	global_load_dwordx2 v[146:147], v[49:50], off offset:784
	v_add_u32_e32 v49, 0x800, v121
	ds_read2_b64 v[50:53], v121 offset0:204 offset1:238
	ds_read2_b64 v[54:57], v49 offset0:16 offset1:50
	s_mov_b32 s12, 0x3f6eb680
	s_mov_b32 s6, 0x3f3d2fb0
	;; [unrolled: 1-line block ×8, first 2 shown]
	s_waitcnt vmcnt(16) lgkmcnt(4)
	v_mul_f32_e32 v124, v35, v59
	v_mul_f32_e32 v149, v34, v59
	s_waitcnt vmcnt(15) lgkmcnt(3)
	v_mul_f32_e32 v150, v37, v61
	v_mul_f32_e32 v59, v36, v61
	s_waitcnt vmcnt(14)
	v_mul_f32_e32 v151, v39, v63
	v_mul_f32_e32 v61, v38, v63
	s_waitcnt vmcnt(13) lgkmcnt(2)
	v_mul_f32_e32 v152, v41, v118
	v_mul_f32_e32 v63, v40, v118
	s_waitcnt vmcnt(12)
	;; [unrolled: 6-line block ×4, first 2 shown]
	v_mul_f32_e32 v158, v33, v135
	v_mul_f32_e32 v131, v32, v135
	v_fma_f32 v148, v34, v58, -v124
	v_fmac_f32_e32 v149, v35, v58
	v_fma_f32 v58, v36, v60, -v150
	v_fmac_f32_e32 v59, v37, v60
	;; [unrolled: 2-line block ×9, first 2 shown]
	ds_write2_b64 v121, v[58:59], v[60:61] offset0:68 offset1:102
	ds_write2_b64 v121, v[62:63], v[117:118] offset0:136 offset1:170
	;; [unrolled: 1-line block ×3, first 2 shown]
	ds_write2_b64 v121, v[130:131], v[148:149] offset1:34
	ds_read2_b64 v[32:35], v49 offset0:84 offset1:118
	v_mul_f32_e32 v157, v57, v133
	v_mul_f32_e32 v37, v56, v133
	v_fma_f32 v36, v56, v132, -v157
	v_fmac_f32_e32 v37, v57, v132
	ds_write2_b64 v49, v[128:129], v[36:37] offset0:16 offset1:50
	s_waitcnt vmcnt(6) lgkmcnt(1)
	v_mul_f32_e32 v36, v33, v137
	v_fma_f32 v40, v32, v136, -v36
	ds_read2_b64 v[36:39], v49 offset0:152 offset1:186
	v_mul_f32_e32 v41, v32, v137
	v_fmac_f32_e32 v41, v33, v136
	s_waitcnt vmcnt(5)
	v_mul_f32_e32 v32, v35, v139
	v_mul_f32_e32 v33, v34, v139
	v_fma_f32 v32, v34, v138, -v32
	v_fmac_f32_e32 v33, v35, v138
	ds_write2_b64 v49, v[40:41], v[32:33] offset0:84 offset1:118
	s_waitcnt vmcnt(4) lgkmcnt(1)
	v_mul_f32_e32 v32, v37, v141
	v_fma_f32 v40, v36, v140, -v32
	ds_read2_b64 v[32:35], v49 offset0:220 offset1:254
	v_mul_f32_e32 v41, v36, v141
	v_fmac_f32_e32 v41, v37, v140
	s_waitcnt vmcnt(3)
	v_mul_f32_e32 v36, v39, v143
	v_mul_f32_e32 v37, v38, v143
	v_fma_f32 v36, v38, v142, -v36
	v_fmac_f32_e32 v37, v39, v142
	ds_write2_b64 v49, v[40:41], v[36:37] offset0:152 offset1:186
	s_waitcnt vmcnt(2) lgkmcnt(1)
	v_mul_f32_e32 v36, v33, v145
	v_mul_f32_e32 v37, v32, v145
	v_fma_f32 v36, v32, v144, -v36
	v_fmac_f32_e32 v37, v33, v144
	ds_read_b64 v[32:33], v121 offset:4352
	s_waitcnt vmcnt(1)
	v_mul_f32_e32 v38, v35, v47
	v_mul_f32_e32 v39, v34, v47
	v_fma_f32 v38, v34, v46, -v38
	v_fmac_f32_e32 v39, v35, v46
	s_waitcnt vmcnt(0) lgkmcnt(0)
	v_mul_f32_e32 v34, v33, v147
	v_mul_f32_e32 v35, v32, v147
	v_fma_f32 v34, v32, v146, -v34
	v_fmac_f32_e32 v35, v33, v146
	ds_write2_b64 v49, v[36:37], v[38:39] offset0:220 offset1:254
	ds_write_b64 v121, v[34:35] offset:4352
	s_waitcnt lgkmcnt(0)
	s_barrier
	ds_read2_b64 v[50:53], v121 offset1:34
	ds_read2_b64 v[54:57], v121 offset0:68 offset1:102
	ds_read2_b64 v[58:61], v121 offset0:136 offset1:170
	;; [unrolled: 1-line block ×7, first 2 shown]
	ds_read_b64 v[62:63], v121 offset:4352
	s_waitcnt lgkmcnt(8)
	v_add_f32_e32 v46, v50, v52
	v_add_f32_e32 v47, v51, v53
	s_waitcnt lgkmcnt(7)
	v_add_f32_e32 v46, v46, v54
	v_add_f32_e32 v47, v47, v55
	v_add_f32_e32 v46, v46, v56
	v_add_f32_e32 v47, v47, v57
	s_waitcnt lgkmcnt(6)
	v_add_f32_e32 v46, v46, v58
	v_add_f32_e32 v47, v47, v59
	;; [unrolled: 5-line block ×7, first 2 shown]
	v_add_f32_e32 v46, v46, v128
	s_waitcnt lgkmcnt(0)
	v_add_f32_e32 v130, v63, v53
	v_sub_f32_e32 v53, v53, v63
	v_add_f32_e32 v47, v47, v129
	v_add_f32_e32 v46, v46, v62
	;; [unrolled: 1-line block ×3, first 2 shown]
	v_sub_f32_e32 v52, v52, v62
	v_mul_f32_e32 v62, 0xbeb8f4ab, v53
	v_mul_f32_e32 v133, 0xbf2c7751, v53
	;; [unrolled: 1-line block ×8, first 2 shown]
	v_add_f32_e32 v47, v47, v63
	v_mov_b32_e32 v63, v62
	v_mov_b32_e32 v134, v133
	;; [unrolled: 1-line block ×8, first 2 shown]
	v_fmac_f32_e32 v63, 0x3f6eb680, v124
	v_fma_f32 v62, v124, s12, -v62
	v_fmac_f32_e32 v134, 0x3f3d2fb0, v124
	v_fma_f32 v133, v124, s6, -v133
	;; [unrolled: 2-line block ×8, first 2 shown]
	v_add_f32_e32 v63, v50, v63
	v_mul_f32_e32 v131, 0x3f6eb680, v130
	v_add_f32_e32 v62, v50, v62
	v_add_f32_e32 v134, v50, v134
	v_mul_f32_e32 v135, 0x3f3d2fb0, v130
	v_add_f32_e32 v133, v50, v133
	;; [unrolled: 3-line block ×8, first 2 shown]
	v_add_f32_e32 v53, v129, v55
	v_sub_f32_e32 v55, v55, v129
	v_mov_b32_e32 v132, v131
	v_mov_b32_e32 v136, v135
	v_mov_b32_e32 v140, v139
	v_mov_b32_e32 v144, v143
	v_mov_b32_e32 v148, v147
	v_mov_b32_e32 v152, v151
	v_mov_b32_e32 v156, v155
	v_mov_b32_e32 v158, v130
	v_mul_f32_e32 v124, 0xbf2c7751, v55
	v_fmac_f32_e32 v132, 0x3eb8f4ab, v52
	v_fmac_f32_e32 v131, 0xbeb8f4ab, v52
	;; [unrolled: 1-line block ×16, first 2 shown]
	v_add_f32_e32 v52, v128, v54
	v_sub_f32_e32 v54, v54, v128
	v_mov_b32_e32 v128, v124
	v_fmac_f32_e32 v128, 0x3f3d2fb0, v52
	v_add_f32_e32 v63, v128, v63
	v_mul_f32_e32 v128, 0x3f3d2fb0, v53
	v_add_f32_e32 v131, v51, v131
	v_mov_b32_e32 v129, v128
	v_fma_f32 v124, v52, s6, -v124
	v_fmac_f32_e32 v128, 0xbf2c7751, v54
	v_add_f32_e32 v62, v124, v62
	v_add_f32_e32 v124, v128, v131
	v_mul_f32_e32 v128, 0xbf7ee86f, v55
	v_add_f32_e32 v132, v51, v132
	v_add_f32_e32 v136, v51, v136
	;; [unrolled: 1-line block ×15, first 2 shown]
	v_mov_b32_e32 v130, v128
	v_fma_f32 v128, v52, s4, -v128
	v_fmac_f32_e32 v129, 0x3f2c7751, v54
	v_fmac_f32_e32 v130, 0x3dbcf732, v52
	v_mul_f32_e32 v131, 0x3dbcf732, v53
	v_add_f32_e32 v128, v128, v133
	v_mul_f32_e32 v133, 0xbf4c4adb, v55
	v_add_f32_e32 v129, v129, v132
	v_add_f32_e32 v130, v130, v134
	v_mov_b32_e32 v132, v131
	v_fmac_f32_e32 v131, 0xbf7ee86f, v54
	v_mov_b32_e32 v134, v133
	v_fma_f32 v133, v52, s13, -v133
	v_fmac_f32_e32 v132, 0x3f7ee86f, v54
	v_add_f32_e32 v131, v131, v135
	v_fmac_f32_e32 v134, 0xbf1a4643, v52
	v_mul_f32_e32 v135, 0xbf1a4643, v53
	v_add_f32_e32 v133, v133, v137
	v_mul_f32_e32 v137, 0xbe3c28d5, v55
	v_add_f32_e32 v132, v132, v136
	v_add_f32_e32 v134, v134, v138
	v_mov_b32_e32 v136, v135
	v_fmac_f32_e32 v135, 0xbf4c4adb, v54
	v_mov_b32_e32 v138, v137
	v_fma_f32 v137, v52, s15, -v137
	v_fmac_f32_e32 v136, 0x3f4c4adb, v54
	v_add_f32_e32 v135, v135, v139
	;; [unrolled: 12-line block ×4, first 2 shown]
	v_fmac_f32_e32 v146, 0xbe8c1d8e, v52
	v_mul_f32_e32 v147, 0xbe8c1d8e, v53
	v_add_f32_e32 v145, v145, v149
	v_mul_f32_e32 v149, 0x3f65296c, v55
	v_add_f32_e32 v144, v144, v148
	v_add_f32_e32 v146, v146, v150
	v_mov_b32_e32 v148, v147
	v_fmac_f32_e32 v147, 0x3f763a35, v54
	v_mov_b32_e32 v150, v149
	v_fma_f32 v149, v52, s5, -v149
	v_mul_f32_e32 v55, 0x3eb8f4ab, v55
	v_fmac_f32_e32 v148, 0xbf763a35, v54
	v_add_f32_e32 v147, v147, v151
	v_fmac_f32_e32 v150, 0x3ee437d1, v52
	v_mul_f32_e32 v151, 0x3ee437d1, v53
	v_add_f32_e32 v149, v149, v153
	v_mov_b32_e32 v153, v55
	v_mul_f32_e32 v53, 0x3f6eb680, v53
	v_add_f32_e32 v148, v148, v152
	v_add_f32_e32 v150, v150, v154
	v_mov_b32_e32 v152, v151
	v_fmac_f32_e32 v153, 0x3f6eb680, v52
	v_mov_b32_e32 v154, v53
	v_fma_f32 v52, v52, s12, -v55
	v_sub_f32_e32 v55, v57, v127
	v_fmac_f32_e32 v152, 0xbf65296c, v54
	v_fmac_f32_e32 v151, 0x3f65296c, v54
	;; [unrolled: 1-line block ×3, first 2 shown]
	v_add_f32_e32 v50, v52, v50
	v_fmac_f32_e32 v53, 0x3eb8f4ab, v54
	v_add_f32_e32 v52, v126, v56
	v_sub_f32_e32 v54, v56, v126
	v_mul_f32_e32 v56, 0xbf65296c, v55
	v_add_f32_e32 v51, v53, v51
	v_add_f32_e32 v53, v127, v57
	v_mov_b32_e32 v57, v56
	v_fmac_f32_e32 v57, 0x3ee437d1, v52
	v_add_f32_e32 v57, v57, v63
	v_mul_f32_e32 v63, 0x3ee437d1, v53
	v_mov_b32_e32 v126, v63
	v_fma_f32 v56, v52, s5, -v56
	v_fmac_f32_e32 v63, 0xbf65296c, v54
	v_add_f32_e32 v56, v56, v62
	v_add_f32_e32 v62, v63, v124
	v_mul_f32_e32 v63, 0xbf4c4adb, v55
	v_mov_b32_e32 v124, v63
	v_fma_f32 v63, v52, s13, -v63
	v_fmac_f32_e32 v126, 0x3f65296c, v54
	v_fmac_f32_e32 v124, 0xbf1a4643, v52
	v_mul_f32_e32 v127, 0xbf1a4643, v53
	v_add_f32_e32 v63, v63, v128
	v_mul_f32_e32 v128, 0x3e3c28d5, v55
	v_add_f32_e32 v126, v126, v129
	v_add_f32_e32 v124, v124, v130
	v_mov_b32_e32 v129, v127
	v_fmac_f32_e32 v127, 0xbf4c4adb, v54
	v_mov_b32_e32 v130, v128
	v_fma_f32 v128, v52, s15, -v128
	v_fmac_f32_e32 v129, 0x3f4c4adb, v54
	v_add_f32_e32 v127, v127, v131
	v_fmac_f32_e32 v130, 0xbf7ba420, v52
	v_mul_f32_e32 v131, 0xbf7ba420, v53
	v_add_f32_e32 v128, v128, v133
	v_mul_f32_e32 v133, 0x3f763a35, v55
	v_add_f32_e32 v129, v129, v132
	v_add_f32_e32 v130, v130, v134
	v_mov_b32_e32 v132, v131
	v_fmac_f32_e32 v131, 0x3e3c28d5, v54
	v_mov_b32_e32 v134, v133
	v_fma_f32 v133, v52, s7, -v133
	v_fmac_f32_e32 v132, 0xbe3c28d5, v54
	v_add_f32_e32 v131, v131, v135
	;; [unrolled: 12-line block ×4, first 2 shown]
	v_fmac_f32_e32 v142, 0x3f6eb680, v52
	v_mul_f32_e32 v143, 0x3f6eb680, v53
	v_add_f32_e32 v141, v141, v145
	v_mul_f32_e32 v145, 0xbf7ee86f, v55
	v_add_f32_e32 v140, v140, v144
	v_add_f32_e32 v142, v142, v146
	v_mov_b32_e32 v144, v143
	v_fmac_f32_e32 v143, 0xbeb8f4ab, v54
	v_mov_b32_e32 v146, v145
	v_fma_f32 v145, v52, s4, -v145
	v_mul_f32_e32 v55, 0xbf06c442, v55
	v_fmac_f32_e32 v144, 0x3eb8f4ab, v54
	v_add_f32_e32 v143, v143, v147
	v_fmac_f32_e32 v146, 0x3dbcf732, v52
	v_mul_f32_e32 v147, 0x3dbcf732, v53
	v_add_f32_e32 v145, v145, v149
	v_mov_b32_e32 v149, v55
	v_mul_f32_e32 v53, 0xbf59a7d5, v53
	v_add_f32_e32 v144, v144, v148
	v_add_f32_e32 v146, v146, v150
	v_mov_b32_e32 v148, v147
	v_fmac_f32_e32 v149, 0xbf59a7d5, v52
	v_mov_b32_e32 v150, v53
	v_fma_f32 v52, v52, s14, -v55
	v_sub_f32_e32 v55, v59, v120
	v_fmac_f32_e32 v148, 0x3f7ee86f, v54
	v_fmac_f32_e32 v147, 0xbf7ee86f, v54
	;; [unrolled: 1-line block ×3, first 2 shown]
	v_add_f32_e32 v50, v52, v50
	v_fmac_f32_e32 v53, 0xbf06c442, v54
	v_add_f32_e32 v52, v119, v58
	v_sub_f32_e32 v54, v58, v119
	v_mul_f32_e32 v58, 0xbf7ee86f, v55
	v_add_f32_e32 v51, v53, v51
	v_add_f32_e32 v53, v120, v59
	v_mov_b32_e32 v59, v58
	v_fmac_f32_e32 v59, 0x3dbcf732, v52
	v_add_f32_e32 v57, v59, v57
	v_mul_f32_e32 v59, 0x3dbcf732, v53
	v_mov_b32_e32 v119, v59
	v_fma_f32 v58, v52, s4, -v58
	v_fmac_f32_e32 v59, 0xbf7ee86f, v54
	v_add_f32_e32 v56, v58, v56
	v_add_f32_e32 v58, v59, v62
	v_mul_f32_e32 v59, 0xbe3c28d5, v55
	v_mov_b32_e32 v62, v59
	v_fmac_f32_e32 v62, 0xbf7ba420, v52
	v_mul_f32_e32 v120, 0xbf7ba420, v53
	v_add_f32_e32 v62, v62, v124
	v_mov_b32_e32 v124, v120
	v_fma_f32 v59, v52, s15, -v59
	v_fmac_f32_e32 v120, 0xbe3c28d5, v54
	v_fmac_f32_e32 v119, 0x3f7ee86f, v54
	v_add_f32_e32 v59, v59, v63
	v_add_f32_e32 v63, v120, v127
	v_mul_f32_e32 v120, 0x3f763a35, v55
	v_add_f32_e32 v119, v119, v126
	v_mov_b32_e32 v126, v120
	v_fma_f32 v120, v52, s7, -v120
	v_fmac_f32_e32 v124, 0x3e3c28d5, v54
	v_fmac_f32_e32 v126, 0xbe8c1d8e, v52
	v_mul_f32_e32 v127, 0xbe8c1d8e, v53
	v_add_f32_e32 v120, v120, v128
	v_mul_f32_e32 v128, 0x3eb8f4ab, v55
	v_add_f32_e32 v124, v124, v129
	v_add_f32_e32 v126, v126, v130
	v_mov_b32_e32 v129, v127
	v_fmac_f32_e32 v127, 0x3f763a35, v54
	v_mov_b32_e32 v130, v128
	v_fma_f32 v128, v52, s12, -v128
	v_fmac_f32_e32 v129, 0xbf763a35, v54
	v_add_f32_e32 v127, v127, v131
	v_fmac_f32_e32 v130, 0x3f6eb680, v52
	v_mul_f32_e32 v131, 0x3f6eb680, v53
	v_add_f32_e32 v128, v128, v133
	v_mul_f32_e32 v133, 0xbf65296c, v55
	v_add_f32_e32 v129, v129, v132
	v_add_f32_e32 v130, v130, v134
	v_mov_b32_e32 v132, v131
	v_fmac_f32_e32 v131, 0x3eb8f4ab, v54
	v_mov_b32_e32 v134, v133
	v_fma_f32 v133, v52, s5, -v133
	v_fmac_f32_e32 v132, 0xbeb8f4ab, v54
	v_add_f32_e32 v131, v131, v135
	;; [unrolled: 12-line block ×3, first 2 shown]
	v_fmac_f32_e32 v138, 0xbf59a7d5, v52
	v_mul_f32_e32 v139, 0xbf59a7d5, v53
	v_add_f32_e32 v137, v137, v141
	v_mul_f32_e32 v141, 0x3f4c4adb, v55
	v_add_f32_e32 v136, v136, v140
	v_add_f32_e32 v138, v138, v142
	v_mov_b32_e32 v140, v139
	v_fmac_f32_e32 v139, 0xbf06c442, v54
	v_mov_b32_e32 v142, v141
	v_fma_f32 v141, v52, s13, -v141
	v_mul_f32_e32 v55, 0x3f2c7751, v55
	v_fmac_f32_e32 v140, 0x3f06c442, v54
	v_add_f32_e32 v139, v139, v143
	v_fmac_f32_e32 v142, 0xbf1a4643, v52
	v_mul_f32_e32 v143, 0xbf1a4643, v53
	v_add_f32_e32 v141, v141, v145
	v_mov_b32_e32 v145, v55
	v_mul_f32_e32 v53, 0x3f3d2fb0, v53
	v_add_f32_e32 v140, v140, v144
	v_add_f32_e32 v142, v142, v146
	v_mov_b32_e32 v144, v143
	v_fmac_f32_e32 v145, 0x3f3d2fb0, v52
	v_mov_b32_e32 v146, v53
	v_fma_f32 v52, v52, s6, -v55
	v_sub_f32_e32 v55, v61, v118
	v_fmac_f32_e32 v144, 0xbf4c4adb, v54
	v_fmac_f32_e32 v143, 0x3f4c4adb, v54
	v_fmac_f32_e32 v146, 0xbf2c7751, v54
	v_add_f32_e32 v50, v52, v50
	v_fmac_f32_e32 v53, 0x3f2c7751, v54
	v_add_f32_e32 v52, v117, v60
	v_sub_f32_e32 v54, v60, v117
	v_mul_f32_e32 v60, 0xbf763a35, v55
	v_add_f32_e32 v51, v53, v51
	v_add_f32_e32 v53, v118, v61
	v_mov_b32_e32 v61, v60
	v_fmac_f32_e32 v61, 0xbe8c1d8e, v52
	v_add_f32_e32 v57, v61, v57
	v_mul_f32_e32 v61, 0xbe8c1d8e, v53
	v_fma_f32 v60, v52, s7, -v60
	v_mov_b32_e32 v117, v61
	v_add_f32_e32 v56, v60, v56
	v_fmac_f32_e32 v61, 0xbf763a35, v54
	v_mul_f32_e32 v60, 0x3f06c442, v55
	v_add_f32_e32 v58, v61, v58
	v_mov_b32_e32 v61, v60
	v_fmac_f32_e32 v61, 0xbf59a7d5, v52
	v_add_f32_e32 v61, v61, v62
	v_mul_f32_e32 v62, 0xbf59a7d5, v53
	v_mov_b32_e32 v118, v62
	v_fma_f32 v60, v52, s14, -v60
	v_fmac_f32_e32 v62, 0x3f06c442, v54
	v_add_f32_e32 v59, v60, v59
	v_add_f32_e32 v60, v62, v63
	v_mul_f32_e32 v62, 0x3f2c7751, v55
	v_fmac_f32_e32 v117, 0x3f763a35, v54
	v_mov_b32_e32 v63, v62
	v_fma_f32 v62, v52, s6, -v62
	v_add_f32_e32 v117, v117, v119
	v_fmac_f32_e32 v118, 0xbf06c442, v54
	v_fmac_f32_e32 v63, 0x3f3d2fb0, v52
	v_mul_f32_e32 v119, 0x3f3d2fb0, v53
	v_add_f32_e32 v62, v62, v120
	v_mul_f32_e32 v120, 0xbf65296c, v55
	v_add_f32_e32 v118, v118, v124
	v_add_f32_e32 v63, v63, v126
	v_mov_b32_e32 v124, v119
	v_fmac_f32_e32 v119, 0x3f2c7751, v54
	v_mov_b32_e32 v126, v120
	v_fma_f32 v120, v52, s5, -v120
	v_fmac_f32_e32 v124, 0xbf2c7751, v54
	v_add_f32_e32 v119, v119, v127
	v_fmac_f32_e32 v126, 0x3ee437d1, v52
	v_mul_f32_e32 v127, 0x3ee437d1, v53
	v_add_f32_e32 v120, v120, v128
	v_mul_f32_e32 v128, 0xbe3c28d5, v55
	v_add_f32_e32 v124, v124, v129
	v_add_f32_e32 v126, v126, v130
	v_mov_b32_e32 v129, v127
	v_fmac_f32_e32 v127, 0xbf65296c, v54
	v_mov_b32_e32 v130, v128
	v_fma_f32 v128, v52, s15, -v128
	v_fmac_f32_e32 v129, 0x3f65296c, v54
	v_add_f32_e32 v127, v127, v131
	;; [unrolled: 12-line block ×3, first 2 shown]
	v_fmac_f32_e32 v134, 0x3dbcf732, v52
	v_mul_f32_e32 v135, 0x3dbcf732, v53
	v_add_f32_e32 v133, v133, v137
	v_mul_f32_e32 v137, 0xbeb8f4ab, v55
	v_add_f32_e32 v132, v132, v136
	v_add_f32_e32 v134, v134, v138
	v_mov_b32_e32 v136, v135
	v_fmac_f32_e32 v135, 0x3f7ee86f, v54
	v_mov_b32_e32 v138, v137
	v_add_f32_e32 v135, v135, v139
	v_fmac_f32_e32 v138, 0x3f6eb680, v52
	v_mul_f32_e32 v139, 0x3f6eb680, v53
	v_fma_f32 v137, v52, s12, -v137
	v_mul_f32_e32 v55, 0xbf4c4adb, v55
	v_mul_f32_e32 v53, 0xbf1a4643, v53
	v_add_f32_e32 v138, v138, v142
	v_add_f32_e32 v137, v137, v141
	v_mov_b32_e32 v141, v55
	v_mov_b32_e32 v142, v53
	v_fmac_f32_e32 v53, 0xbf4c4adb, v54
	v_fmac_f32_e32 v141, 0xbf1a4643, v52
	v_fma_f32 v52, v52, s13, -v55
	v_add_f32_e32 v51, v53, v51
	v_add_f32_e32 v53, v43, v37
	v_sub_f32_e32 v37, v37, v43
	v_fmac_f32_e32 v136, 0xbf7ee86f, v54
	v_add_f32_e32 v50, v52, v50
	v_add_f32_e32 v52, v42, v36
	v_sub_f32_e32 v36, v36, v42
	v_mul_f32_e32 v42, 0xbf4c4adb, v37
	v_add_f32_e32 v136, v136, v140
	v_mov_b32_e32 v140, v139
	v_mov_b32_e32 v43, v42
	v_fma_f32 v42, v52, s13, -v42
	v_fmac_f32_e32 v140, 0x3eb8f4ab, v54
	v_fmac_f32_e32 v139, 0xbeb8f4ab, v54
	;; [unrolled: 1-line block ×4, first 2 shown]
	v_mul_f32_e32 v54, 0xbf1a4643, v53
	v_add_f32_e32 v42, v42, v56
	v_mul_f32_e32 v56, 0x3f763a35, v37
	v_add_f32_e32 v43, v43, v57
	v_mov_b32_e32 v55, v54
	v_fmac_f32_e32 v54, 0xbf4c4adb, v36
	v_mov_b32_e32 v57, v56
	v_add_f32_e32 v54, v54, v58
	v_fmac_f32_e32 v57, 0xbe8c1d8e, v52
	v_mul_f32_e32 v58, 0xbe8c1d8e, v53
	v_fma_f32 v56, v52, s7, -v56
	v_add_f32_e32 v57, v57, v61
	v_mov_b32_e32 v61, v58
	v_add_f32_e32 v56, v56, v59
	v_fmac_f32_e32 v58, 0x3f763a35, v36
	v_mul_f32_e32 v59, 0xbeb8f4ab, v37
	v_add_f32_e32 v58, v58, v60
	v_mov_b32_e32 v60, v59
	v_fmac_f32_e32 v60, 0x3f6eb680, v52
	v_fmac_f32_e32 v55, 0x3f4c4adb, v36
	v_add_f32_e32 v60, v60, v63
	v_mul_f32_e32 v63, 0x3f6eb680, v53
	v_add_f32_e32 v55, v55, v117
	v_mov_b32_e32 v117, v63
	v_fma_f32 v59, v52, s12, -v59
	v_fmac_f32_e32 v63, 0xbeb8f4ab, v36
	v_fmac_f32_e32 v61, 0xbf763a35, v36
	v_add_f32_e32 v59, v59, v62
	v_add_f32_e32 v62, v63, v119
	v_mul_f32_e32 v63, 0xbf06c442, v37
	v_add_f32_e32 v61, v61, v118
	v_mov_b32_e32 v118, v63
	v_fma_f32 v63, v52, s14, -v63
	v_fmac_f32_e32 v117, 0x3eb8f4ab, v36
	v_fmac_f32_e32 v118, 0xbf59a7d5, v52
	v_mul_f32_e32 v119, 0xbf59a7d5, v53
	v_add_f32_e32 v63, v63, v120
	v_mul_f32_e32 v120, 0x3f7ee86f, v37
	v_add_f32_e32 v117, v117, v124
	v_add_f32_e32 v118, v118, v126
	v_mov_b32_e32 v124, v119
	v_fmac_f32_e32 v119, 0xbf06c442, v36
	v_mov_b32_e32 v126, v120
	v_fma_f32 v120, v52, s4, -v120
	v_fmac_f32_e32 v124, 0x3f06c442, v36
	v_add_f32_e32 v119, v119, v127
	v_fmac_f32_e32 v126, 0x3dbcf732, v52
	v_mul_f32_e32 v127, 0x3dbcf732, v53
	v_add_f32_e32 v120, v120, v128
	v_mul_f32_e32 v128, 0xbf2c7751, v37
	v_add_f32_e32 v124, v124, v129
	v_add_f32_e32 v126, v126, v130
	v_mov_b32_e32 v129, v127
	v_fmac_f32_e32 v127, 0x3f7ee86f, v36
	v_mov_b32_e32 v130, v128
	v_fma_f32 v128, v52, s6, -v128
	v_fmac_f32_e32 v129, 0xbf7ee86f, v36
	v_add_f32_e32 v127, v127, v131
	v_fmac_f32_e32 v130, 0x3f3d2fb0, v52
	v_mul_f32_e32 v131, 0x3f3d2fb0, v53
	v_add_f32_e32 v128, v128, v133
	v_mul_f32_e32 v133, 0xbe3c28d5, v37
	v_add_f32_e32 v129, v129, v132
	v_add_f32_e32 v130, v130, v134
	v_mov_b32_e32 v132, v131
	v_fmac_f32_e32 v131, 0xbf2c7751, v36
	v_mov_b32_e32 v134, v133
	v_fmac_f32_e32 v132, 0x3f2c7751, v36
	v_add_f32_e32 v131, v131, v135
	v_fmac_f32_e32 v134, 0xbf7ba420, v52
	v_mul_f32_e32 v135, 0xbf7ba420, v53
	v_mul_f32_e32 v53, 0x3ee437d1, v53
	v_add_f32_e32 v132, v132, v136
	v_add_f32_e32 v134, v134, v138
	v_mov_b32_e32 v136, v135
	v_fma_f32 v133, v52, s15, -v133
	v_mul_f32_e32 v37, 0x3f65296c, v37
	v_mov_b32_e32 v138, v53
	v_fmac_f32_e32 v53, 0x3f65296c, v36
	v_fmac_f32_e32 v136, 0x3e3c28d5, v36
	v_add_f32_e32 v133, v133, v137
	v_fmac_f32_e32 v135, 0xbe3c28d5, v36
	v_mov_b32_e32 v137, v37
	v_fmac_f32_e32 v138, 0xbf65296c, v36
	v_fma_f32 v37, v52, s5, -v37
	v_add_f32_e32 v36, v53, v51
	v_add_f32_e32 v51, v41, v39
	v_sub_f32_e32 v39, v39, v41
	v_add_f32_e32 v37, v37, v50
	v_add_f32_e32 v50, v40, v38
	v_sub_f32_e32 v38, v38, v40
	v_mul_f32_e32 v40, 0xbf06c442, v39
	v_mov_b32_e32 v41, v40
	v_fmac_f32_e32 v41, 0xbf59a7d5, v50
	v_add_f32_e32 v41, v41, v43
	v_mul_f32_e32 v43, 0xbf59a7d5, v51
	v_fmac_f32_e32 v137, 0x3ee437d1, v52
	v_mov_b32_e32 v52, v43
	v_fma_f32 v40, v50, s14, -v40
	v_fmac_f32_e32 v43, 0xbf06c442, v38
	v_add_f32_e32 v40, v40, v42
	v_add_f32_e32 v42, v43, v54
	v_mul_f32_e32 v43, 0x3f65296c, v39
	v_mov_b32_e32 v53, v43
	v_fma_f32 v43, v50, s5, -v43
	v_fmac_f32_e32 v52, 0x3f06c442, v38
	v_fmac_f32_e32 v53, 0x3ee437d1, v50
	v_mul_f32_e32 v54, 0x3ee437d1, v51
	v_add_f32_e32 v43, v43, v56
	v_mul_f32_e32 v56, 0xbf7ee86f, v39
	v_add_f32_e32 v52, v52, v55
	v_add_f32_e32 v53, v53, v57
	v_mov_b32_e32 v55, v54
	v_fmac_f32_e32 v54, 0x3f65296c, v38
	v_mov_b32_e32 v57, v56
	v_fma_f32 v56, v50, s4, -v56
	v_fmac_f32_e32 v55, 0xbf65296c, v38
	v_add_f32_e32 v54, v54, v58
	v_fmac_f32_e32 v57, 0x3dbcf732, v50
	v_mul_f32_e32 v58, 0x3dbcf732, v51
	v_add_f32_e32 v56, v56, v59
	v_mul_f32_e32 v59, 0x3f4c4adb, v39
	v_add_f32_e32 v55, v55, v61
	v_add_f32_e32 v57, v57, v60
	v_mov_b32_e32 v60, v58
	v_fmac_f32_e32 v58, 0xbf7ee86f, v38
	v_mov_b32_e32 v61, v59
	v_fma_f32 v59, v50, s13, -v59
	v_fmac_f32_e32 v60, 0x3f7ee86f, v38
	v_add_f32_e32 v58, v58, v62
	;; [unrolled: 12-line block ×3, first 2 shown]
	v_fmac_f32_e32 v118, 0x3f6eb680, v50
	v_mul_f32_e32 v119, 0x3f6eb680, v51
	v_add_f32_e32 v63, v63, v120
	v_mul_f32_e32 v120, 0xbe3c28d5, v39
	v_add_f32_e32 v117, v117, v124
	v_add_f32_e32 v118, v118, v126
	v_mov_b32_e32 v124, v119
	v_fmac_f32_e32 v119, 0xbeb8f4ab, v38
	v_mov_b32_e32 v126, v120
	v_fma_f32 v120, v50, s15, -v120
	v_add_f32_e32 v154, v154, v158
	v_fmac_f32_e32 v124, 0x3eb8f4ab, v38
	v_add_f32_e32 v119, v119, v127
	v_fmac_f32_e32 v126, 0xbf7ba420, v50
	v_mul_f32_e32 v127, 0xbf7ba420, v51
	v_add_f32_e32 v120, v120, v128
	v_mul_f32_e32 v128, 0x3f2c7751, v39
	v_add_f32_e32 v150, v150, v154
	v_add_f32_e32 v124, v124, v129
	;; [unrolled: 1-line block ×3, first 2 shown]
	v_mov_b32_e32 v129, v127
	v_fmac_f32_e32 v127, 0xbe3c28d5, v38
	v_mov_b32_e32 v130, v128
	v_add_f32_e32 v152, v152, v156
	v_add_f32_e32 v151, v151, v155
	;; [unrolled: 1-line block ×5, first 2 shown]
	v_fmac_f32_e32 v130, 0x3f3d2fb0, v50
	v_mul_f32_e32 v131, 0x3f3d2fb0, v51
	v_mul_f32_e32 v51, 0xbe8c1d8e, v51
	v_add_f32_e32 v148, v148, v152
	v_add_f32_e32 v147, v147, v151
	;; [unrolled: 1-line block ×5, first 2 shown]
	v_mov_b32_e32 v134, v51
	v_add_f32_e32 v144, v144, v148
	v_add_f32_e32 v143, v143, v147
	;; [unrolled: 1-line block ×4, first 2 shown]
	v_fma_f32 v128, v50, s6, -v128
	v_mul_f32_e32 v39, 0xbf763a35, v39
	v_fmac_f32_e32 v134, 0x3f763a35, v38
	v_add_f32_e32 v140, v140, v144
	v_add_f32_e32 v139, v139, v143
	;; [unrolled: 1-line block ×4, first 2 shown]
	v_mov_b32_e32 v133, v39
	v_add_f32_e32 v134, v134, v138
	v_add_f32_e32 v138, v35, v33
	;; [unrolled: 1-line block ×5, first 2 shown]
	v_fmac_f32_e32 v129, 0x3e3c28d5, v38
	v_fmac_f32_e32 v133, 0xbe8c1d8e, v50
	v_sub_f32_e32 v139, v32, v34
	v_sub_f32_e32 v140, v33, v35
	v_mul_f32_e32 v35, 0xbf7ba420, v138
	v_add_f32_e32 v129, v129, v132
	v_mov_b32_e32 v132, v131
	v_add_f32_e32 v133, v133, v137
	v_add_f32_e32 v137, v34, v32
	v_mul_f32_e32 v34, 0xbe3c28d5, v140
	v_mov_b32_e32 v33, v35
	v_fmac_f32_e32 v35, 0xbe3c28d5, v139
	v_fmac_f32_e32 v132, 0xbf2c7751, v38
	;; [unrolled: 1-line block ×3, first 2 shown]
	v_fma_f32 v39, v50, s7, -v39
	v_fmac_f32_e32 v51, 0xbf763a35, v38
	v_mov_b32_e32 v32, v34
	v_fmac_f32_e32 v33, 0x3e3c28d5, v139
	v_fma_f32 v34, v137, s15, -v34
	v_add_f32_e32 v35, v35, v42
	v_mul_f32_e32 v38, 0x3eb8f4ab, v140
	v_mul_f32_e32 v42, 0xbf06c442, v140
	v_add_f32_e32 v132, v132, v136
	v_add_f32_e32 v131, v131, v135
	;; [unrolled: 1-line block ×6, first 2 shown]
	v_mov_b32_e32 v36, v38
	v_mul_f32_e32 v39, 0x3f6eb680, v138
	v_fma_f32 v38, v137, s12, -v38
	v_mov_b32_e32 v40, v42
	v_mul_f32_e32 v52, 0x3f2c7751, v140
	v_fmac_f32_e32 v32, 0xbf7ba420, v137
	v_fmac_f32_e32 v36, 0x3f6eb680, v137
	v_mov_b32_e32 v37, v39
	v_add_f32_e32 v38, v38, v43
	v_fmac_f32_e32 v40, 0xbf59a7d5, v137
	v_mul_f32_e32 v43, 0xbf59a7d5, v138
	v_mov_b32_e32 v50, v52
	v_add_f32_e32 v32, v32, v41
	v_add_f32_e32 v36, v36, v53
	v_fmac_f32_e32 v37, 0xbeb8f4ab, v139
	v_add_f32_e32 v40, v40, v57
	v_mov_b32_e32 v41, v43
	v_fma_f32 v42, v137, s14, -v42
	v_fmac_f32_e32 v50, 0x3f3d2fb0, v137
	v_mul_f32_e32 v53, 0x3f3d2fb0, v138
	v_mul_f32_e32 v57, 0xbf1a4643, v138
	v_add_f32_e32 v37, v37, v55
	v_fmac_f32_e32 v39, 0x3eb8f4ab, v139
	v_fmac_f32_e32 v41, 0x3f06c442, v139
	v_add_f32_e32 v42, v42, v56
	v_add_f32_e32 v50, v50, v61
	v_mov_b32_e32 v51, v53
	v_fma_f32 v52, v137, s6, -v52
	v_mul_f32_e32 v56, 0xbf4c4adb, v140
	v_mov_b32_e32 v55, v57
	v_mul_f32_e32 v61, 0x3ee437d1, v138
	v_add_f32_e32 v39, v39, v54
	v_add_f32_e32 v41, v41, v60
	v_fmac_f32_e32 v43, 0xbf06c442, v139
	v_fmac_f32_e32 v51, 0xbf2c7751, v139
	v_add_f32_e32 v52, v52, v59
	v_mov_b32_e32 v54, v56
	v_fmac_f32_e32 v55, 0x3f4c4adb, v139
	v_mul_f32_e32 v60, 0x3f65296c, v140
	v_mov_b32_e32 v59, v61
	v_fmac_f32_e32 v61, 0x3f65296c, v139
	v_add_f32_e32 v43, v43, v58
	v_add_f32_e32 v51, v51, v117
	v_fmac_f32_e32 v53, 0x3f2c7751, v139
	v_fmac_f32_e32 v54, 0xbf1a4643, v137
	v_add_f32_e32 v55, v55, v124
	v_fmac_f32_e32 v57, 0xbf4c4adb, v139
	v_mov_b32_e32 v58, v60
	v_fma_f32 v60, v137, s5, -v60
	v_add_f32_e32 v61, v61, v127
	v_mul_f32_e32 v117, 0xbf763a35, v140
	v_mul_f32_e32 v124, 0x3f7ee86f, v140
	;; [unrolled: 1-line block ×3, first 2 shown]
	v_add_f32_e32 v53, v53, v62
	v_add_f32_e32 v54, v54, v118
	v_fma_f32 v56, v137, s13, -v56
	v_add_f32_e32 v57, v57, v119
	v_add_f32_e32 v60, v60, v120
	v_mov_b32_e32 v62, v117
	v_mul_f32_e32 v118, 0xbe8c1d8e, v138
	v_mov_b32_e32 v119, v124
	v_mov_b32_e32 v120, v127
	v_add_f32_e32 v56, v56, v63
	v_fmac_f32_e32 v58, 0x3ee437d1, v137
	v_fmac_f32_e32 v59, 0xbf65296c, v139
	;; [unrolled: 1-line block ×3, first 2 shown]
	v_mov_b32_e32 v63, v118
	v_fma_f32 v117, v137, s7, -v117
	v_fmac_f32_e32 v118, 0xbf763a35, v139
	v_fmac_f32_e32 v119, 0x3dbcf732, v137
	;; [unrolled: 1-line block ×3, first 2 shown]
	v_fma_f32 v124, v137, s4, -v124
	v_fmac_f32_e32 v127, 0x3f7ee86f, v139
	v_add_f32_e32 v58, v58, v126
	v_add_f32_e32 v59, v59, v129
	;; [unrolled: 1-line block ×3, first 2 shown]
	v_fmac_f32_e32 v63, 0x3f763a35, v139
	v_add_f32_e32 v117, v117, v128
	v_add_f32_e32 v118, v118, v131
	;; [unrolled: 1-line block ×7, first 2 shown]
	s_barrier
	ds_write2_b64 v123, v[46:47], v[32:33] offset1:1
	ds_write2_b64 v123, v[36:37], v[40:41] offset0:2 offset1:3
	ds_write2_b64 v123, v[50:51], v[54:55] offset0:4 offset1:5
	;; [unrolled: 1-line block ×7, first 2 shown]
	ds_write_b64 v123, v[34:35] offset:128
	s_waitcnt lgkmcnt(0)
	s_barrier
	ds_read2_b64 v[32:35], v121 offset1:34
	ds_read2_b64 v[36:39], v121 offset0:68 offset1:102
	ds_read2_b64 v[40:43], v121 offset0:136 offset1:170
	;; [unrolled: 1-line block ×7, first 2 shown]
	ds_read_b64 v[46:47], v121 offset:4352
	s_waitcnt lgkmcnt(8)
	v_mul_f32_e32 v62, v25, v35
	v_mul_f32_e32 v25, v25, v34
	v_fmac_f32_e32 v62, v24, v34
	v_fma_f32 v34, v24, v35, -v25
	s_waitcnt lgkmcnt(7)
	v_mul_f32_e32 v35, v27, v37
	v_fmac_f32_e32 v35, v26, v36
	v_mul_f32_e32 v24, v27, v36
	v_mul_f32_e32 v36, v17, v39
	v_mul_f32_e32 v17, v17, v38
	v_fma_f32 v27, v26, v37, -v24
	v_fmac_f32_e32 v36, v16, v38
	v_fma_f32 v37, v16, v39, -v17
	s_waitcnt lgkmcnt(6)
	v_mul_f32_e32 v38, v19, v41
	v_mul_f32_e32 v16, v19, v40
	;; [unrolled: 1-line block ×4, first 2 shown]
	v_fmac_f32_e32 v38, v18, v40
	v_fma_f32 v39, v18, v41, -v16
	v_fmac_f32_e32 v25, v8, v42
	v_fma_f32 v26, v8, v43, -v9
	s_waitcnt lgkmcnt(5)
	v_mul_f32_e32 v18, v11, v51
	v_mul_f32_e32 v8, v11, v50
	v_fmac_f32_e32 v18, v10, v50
	v_fma_f32 v19, v10, v51, -v8
	v_mul_f32_e32 v10, v1, v53
	v_mul_f32_e32 v1, v1, v52
	v_fmac_f32_e32 v10, v0, v52
	v_fma_f32 v11, v0, v53, -v1
	s_waitcnt lgkmcnt(4)
	v_mul_f32_e32 v8, v3, v55
	v_mul_f32_e32 v0, v3, v54
	v_fmac_f32_e32 v8, v2, v54
	v_fma_f32 v2, v2, v55, -v0
	v_mul_f32_e32 v0, v29, v56
	v_fma_f32 v9, v28, v57, -v0
	s_waitcnt lgkmcnt(3)
	v_mul_f32_e32 v0, v31, v58
	v_fma_f32 v17, v30, v59, -v0
	v_mul_f32_e32 v24, v21, v61
	v_mul_f32_e32 v0, v21, v60
	v_fmac_f32_e32 v24, v20, v60
	v_fma_f32 v20, v20, v61, -v0
	s_waitcnt lgkmcnt(2)
	v_mul_f32_e32 v21, v23, v118
	v_mul_f32_e32 v0, v23, v117
	v_fmac_f32_e32 v21, v22, v117
	v_fma_f32 v22, v22, v118, -v0
	v_mul_f32_e32 v23, v13, v120
	v_mul_f32_e32 v0, v13, v119
	v_fmac_f32_e32 v23, v12, v119
	v_fma_f32 v12, v12, v120, -v0
	s_waitcnt lgkmcnt(1)
	v_mul_f32_e32 v13, v15, v127
	v_mul_f32_e32 v0, v15, v126
	v_fmac_f32_e32 v13, v14, v126
	;; [unrolled: 9-line block ×3, first 2 shown]
	v_fma_f32 v6, v6, v47, -v0
	v_add_f32_e32 v0, v32, v62
	v_add_f32_e32 v1, v33, v34
	;; [unrolled: 1-line block ×12, first 2 shown]
	v_mul_f32_e32 v3, v29, v57
	v_add_f32_e32 v0, v0, v10
	v_add_f32_e32 v1, v1, v11
	v_fmac_f32_e32 v3, v28, v56
	v_mul_f32_e32 v16, v31, v59
	v_add_f32_e32 v0, v0, v8
	v_add_f32_e32 v1, v1, v2
	v_fmac_f32_e32 v16, v30, v58
	v_add_f32_e32 v0, v0, v3
	v_add_f32_e32 v1, v1, v9
	;; [unrolled: 1-line block ×18, first 2 shown]
	v_sub_f32_e32 v5, v62, v5
	v_sub_f32_e32 v6, v34, v6
	v_mul_f32_e32 v31, 0x3f6eb680, v28
	v_mul_f32_e32 v42, 0x3f3d2fb0, v28
	;; [unrolled: 1-line block ×9, first 2 shown]
	v_mov_b32_e32 v34, v31
	v_mul_f32_e32 v40, 0xbf2c7751, v6
	v_mov_b32_e32 v43, v42
	v_mul_f32_e32 v46, 0xbf65296c, v6
	;; [unrolled: 2-line block ×7, first 2 shown]
	v_mov_b32_e32 v124, v28
	v_fmac_f32_e32 v28, 0xbe3c28d5, v5
	v_mov_b32_e32 v30, v29
	v_fmac_f32_e32 v34, 0x3eb8f4ab, v5
	v_fmac_f32_e32 v31, 0xbeb8f4ab, v5
	v_mov_b32_e32 v41, v40
	v_fmac_f32_e32 v43, 0x3f2c7751, v5
	v_fmac_f32_e32 v42, 0xbf2c7751, v5
	v_mov_b32_e32 v47, v46
	v_fmac_f32_e32 v51, 0x3f65296c, v5
	v_fmac_f32_e32 v50, 0xbf65296c, v5
	v_mov_b32_e32 v53, v52
	v_fmac_f32_e32 v55, 0x3f7ee86f, v5
	v_fmac_f32_e32 v54, 0xbf7ee86f, v5
	v_mov_b32_e32 v57, v56
	v_fmac_f32_e32 v59, 0x3f763a35, v5
	v_fmac_f32_e32 v58, 0xbf763a35, v5
	v_mov_b32_e32 v61, v60
	v_fmac_f32_e32 v63, 0x3f4c4adb, v5
	v_fmac_f32_e32 v62, 0xbf4c4adb, v5
	v_mov_b32_e32 v118, v117
	v_fmac_f32_e32 v120, 0x3f06c442, v5
	v_fmac_f32_e32 v119, 0xbf06c442, v5
	v_mov_b32_e32 v123, v6
	v_fmac_f32_e32 v124, 0x3e3c28d5, v5
	v_add_f32_e32 v5, v33, v28
	v_add_f32_e32 v28, v27, v4
	v_sub_f32_e32 v4, v27, v4
	v_fmac_f32_e32 v30, 0x3f6eb680, v7
	v_fma_f32 v29, v7, s12, -v29
	v_fmac_f32_e32 v41, 0x3f3d2fb0, v7
	v_fma_f32 v40, v7, s6, -v40
	;; [unrolled: 2-line block ×8, first 2 shown]
	v_mul_f32_e32 v27, 0xbf2c7751, v4
	v_add_f32_e32 v30, v32, v30
	v_add_f32_e32 v29, v32, v29
	;; [unrolled: 1-line block ×17, first 2 shown]
	v_mov_b32_e32 v32, v27
	v_fmac_f32_e32 v32, 0x3f3d2fb0, v7
	v_sub_f32_e32 v15, v35, v15
	v_add_f32_e32 v30, v32, v30
	v_mul_f32_e32 v32, 0x3f3d2fb0, v28
	v_add_f32_e32 v34, v33, v34
	v_add_f32_e32 v31, v33, v31
	v_add_f32_e32 v43, v33, v43
	v_add_f32_e32 v42, v33, v42
	v_add_f32_e32 v51, v33, v51
	v_add_f32_e32 v50, v33, v50
	v_add_f32_e32 v55, v33, v55
	v_add_f32_e32 v54, v33, v54
	v_add_f32_e32 v59, v33, v59
	v_add_f32_e32 v58, v33, v58
	v_add_f32_e32 v63, v33, v63
	v_add_f32_e32 v62, v33, v62
	v_add_f32_e32 v120, v33, v120
	v_add_f32_e32 v119, v33, v119
	v_add_f32_e32 v124, v33, v124
	v_mov_b32_e32 v33, v32
	v_fma_f32 v27, v7, s6, -v27
	v_fmac_f32_e32 v32, 0xbf2c7751, v15
	v_add_f32_e32 v27, v27, v29
	v_add_f32_e32 v29, v32, v31
	v_mul_f32_e32 v31, 0xbf7ee86f, v4
	v_fmac_f32_e32 v33, 0x3f2c7751, v15
	v_mov_b32_e32 v32, v31
	v_fma_f32 v31, v7, s4, -v31
	v_add_f32_e32 v33, v33, v34
	v_fmac_f32_e32 v32, 0x3dbcf732, v7
	v_mul_f32_e32 v34, 0x3dbcf732, v28
	v_add_f32_e32 v31, v31, v40
	v_mul_f32_e32 v40, 0xbf4c4adb, v4
	v_add_f32_e32 v32, v32, v41
	v_mov_b32_e32 v35, v34
	v_fmac_f32_e32 v34, 0xbf7ee86f, v15
	v_mov_b32_e32 v41, v40
	v_fma_f32 v40, v7, s13, -v40
	v_fmac_f32_e32 v35, 0x3f7ee86f, v15
	v_add_f32_e32 v34, v34, v42
	v_fmac_f32_e32 v41, 0xbf1a4643, v7
	v_mul_f32_e32 v42, 0xbf1a4643, v28
	v_add_f32_e32 v40, v40, v46
	v_mul_f32_e32 v46, 0xbe3c28d5, v4
	v_add_f32_e32 v35, v35, v43
	v_add_f32_e32 v41, v41, v47
	v_mov_b32_e32 v43, v42
	v_fmac_f32_e32 v42, 0xbf4c4adb, v15
	v_mov_b32_e32 v47, v46
	v_fma_f32 v46, v7, s15, -v46
	v_fmac_f32_e32 v43, 0x3f4c4adb, v15
	v_add_f32_e32 v42, v42, v50
	v_fmac_f32_e32 v47, 0xbf7ba420, v7
	v_mul_f32_e32 v50, 0xbf7ba420, v28
	v_add_f32_e32 v46, v46, v52
	v_mul_f32_e32 v52, 0x3f06c442, v4
	v_add_f32_e32 v43, v43, v51
	;; [unrolled: 12-line block ×4, first 2 shown]
	v_add_f32_e32 v57, v57, v61
	v_mov_b32_e32 v59, v58
	v_fmac_f32_e32 v58, 0x3f763a35, v15
	v_mov_b32_e32 v61, v60
	v_fma_f32 v60, v7, s5, -v60
	v_mul_f32_e32 v4, 0x3eb8f4ab, v4
	v_fmac_f32_e32 v59, 0xbf763a35, v15
	v_add_f32_e32 v58, v58, v62
	v_fmac_f32_e32 v61, 0x3ee437d1, v7
	v_mul_f32_e32 v62, 0x3ee437d1, v28
	v_add_f32_e32 v60, v60, v117
	v_mov_b32_e32 v117, v4
	v_mul_f32_e32 v28, 0x3f6eb680, v28
	v_add_f32_e32 v59, v59, v63
	v_add_f32_e32 v61, v61, v118
	v_mov_b32_e32 v63, v62
	v_fmac_f32_e32 v117, 0x3f6eb680, v7
	v_mov_b32_e32 v118, v28
	v_fma_f32 v4, v7, s12, -v4
	v_add_f32_e32 v7, v37, v14
	v_sub_f32_e32 v14, v37, v14
	v_fmac_f32_e32 v63, 0xbf65296c, v15
	v_fmac_f32_e32 v62, 0x3f65296c, v15
	;; [unrolled: 1-line block ×4, first 2 shown]
	v_mul_f32_e32 v15, 0xbf65296c, v14
	v_add_f32_e32 v4, v4, v6
	v_add_f32_e32 v5, v28, v5
	;; [unrolled: 1-line block ×3, first 2 shown]
	v_mov_b32_e32 v28, v15
	v_fmac_f32_e32 v28, 0x3ee437d1, v6
	v_sub_f32_e32 v13, v36, v13
	v_add_f32_e32 v28, v28, v30
	v_mul_f32_e32 v30, 0x3ee437d1, v7
	v_mov_b32_e32 v36, v30
	v_fma_f32 v15, v6, s5, -v15
	v_fmac_f32_e32 v30, 0xbf65296c, v13
	v_add_f32_e32 v15, v15, v27
	v_add_f32_e32 v27, v30, v29
	v_mul_f32_e32 v29, 0xbf4c4adb, v14
	v_mov_b32_e32 v30, v29
	v_fmac_f32_e32 v30, 0xbf1a4643, v6
	v_fmac_f32_e32 v36, 0x3f65296c, v13
	v_add_f32_e32 v30, v30, v32
	v_mul_f32_e32 v32, 0xbf1a4643, v7
	v_add_f32_e32 v33, v36, v33
	v_mov_b32_e32 v36, v32
	v_fma_f32 v29, v6, s13, -v29
	v_fmac_f32_e32 v32, 0xbf4c4adb, v13
	v_add_f32_e32 v29, v29, v31
	v_add_f32_e32 v31, v32, v34
	v_mul_f32_e32 v32, 0x3e3c28d5, v14
	v_fmac_f32_e32 v36, 0x3f4c4adb, v13
	v_mov_b32_e32 v34, v32
	v_fma_f32 v32, v6, s15, -v32
	v_add_f32_e32 v35, v36, v35
	v_fmac_f32_e32 v34, 0xbf7ba420, v6
	v_mul_f32_e32 v36, 0xbf7ba420, v7
	v_add_f32_e32 v32, v32, v40
	v_mul_f32_e32 v40, 0x3f763a35, v14
	v_add_f32_e32 v34, v34, v41
	v_mov_b32_e32 v37, v36
	v_fmac_f32_e32 v36, 0x3e3c28d5, v13
	v_mov_b32_e32 v41, v40
	v_fma_f32 v40, v6, s7, -v40
	v_fmac_f32_e32 v37, 0xbe3c28d5, v13
	v_add_f32_e32 v36, v36, v42
	v_fmac_f32_e32 v41, 0xbe8c1d8e, v6
	v_mul_f32_e32 v42, 0xbe8c1d8e, v7
	v_add_f32_e32 v40, v40, v46
	v_mul_f32_e32 v46, 0x3f2c7751, v14
	v_add_f32_e32 v37, v37, v43
	v_add_f32_e32 v41, v41, v47
	v_mov_b32_e32 v43, v42
	v_fmac_f32_e32 v42, 0x3f763a35, v13
	v_mov_b32_e32 v47, v46
	v_fma_f32 v46, v6, s6, -v46
	v_fmac_f32_e32 v43, 0xbf763a35, v13
	v_add_f32_e32 v42, v42, v50
	v_fmac_f32_e32 v47, 0x3f3d2fb0, v6
	v_mul_f32_e32 v50, 0x3f3d2fb0, v7
	v_add_f32_e32 v46, v46, v52
	v_mul_f32_e32 v52, 0xbeb8f4ab, v14
	v_add_f32_e32 v43, v43, v51
	v_add_f32_e32 v47, v47, v53
	v_mov_b32_e32 v51, v50
	v_fmac_f32_e32 v50, 0x3f2c7751, v13
	v_mov_b32_e32 v53, v52
	v_fma_f32 v52, v6, s12, -v52
	v_fmac_f32_e32 v51, 0xbf2c7751, v13
	v_add_f32_e32 v50, v50, v54
	v_fmac_f32_e32 v53, 0x3f6eb680, v6
	v_mul_f32_e32 v54, 0x3f6eb680, v7
	v_add_f32_e32 v52, v52, v56
	v_mul_f32_e32 v56, 0xbf7ee86f, v14
	v_add_f32_e32 v51, v51, v55
	v_add_f32_e32 v53, v53, v57
	v_mov_b32_e32 v55, v54
	v_fmac_f32_e32 v54, 0xbeb8f4ab, v13
	v_mov_b32_e32 v57, v56
	v_add_f32_e32 v54, v54, v58
	v_fmac_f32_e32 v57, 0x3dbcf732, v6
	v_mul_f32_e32 v58, 0x3dbcf732, v7
	v_mul_f32_e32 v7, 0xbf59a7d5, v7
	v_add_f32_e32 v57, v57, v61
	v_fma_f32 v56, v6, s4, -v56
	v_mul_f32_e32 v14, 0xbf06c442, v14
	v_mov_b32_e32 v61, v7
	v_fmac_f32_e32 v7, 0xbf06c442, v13
	v_fmac_f32_e32 v55, 0x3eb8f4ab, v13
	v_add_f32_e32 v56, v56, v60
	v_mov_b32_e32 v60, v14
	v_add_f32_e32 v5, v7, v5
	v_add_f32_e32 v7, v39, v12
	v_sub_f32_e32 v12, v39, v12
	v_add_f32_e32 v55, v55, v59
	v_mov_b32_e32 v59, v58
	v_fmac_f32_e32 v60, 0xbf59a7d5, v6
	v_fma_f32 v6, v6, s14, -v14
	v_mul_f32_e32 v14, 0xbf7ee86f, v12
	v_fmac_f32_e32 v59, 0x3f7ee86f, v13
	v_fmac_f32_e32 v58, 0xbf7ee86f, v13
	;; [unrolled: 1-line block ×3, first 2 shown]
	v_add_f32_e32 v4, v6, v4
	v_add_f32_e32 v6, v38, v23
	v_sub_f32_e32 v13, v38, v23
	v_mov_b32_e32 v23, v14
	v_fmac_f32_e32 v23, 0x3dbcf732, v6
	v_add_f32_e32 v23, v23, v28
	v_mul_f32_e32 v28, 0x3dbcf732, v7
	v_mov_b32_e32 v38, v28
	v_fma_f32 v14, v6, s4, -v14
	v_fmac_f32_e32 v28, 0xbf7ee86f, v13
	v_add_f32_e32 v14, v14, v15
	v_add_f32_e32 v15, v28, v27
	v_mul_f32_e32 v27, 0xbe3c28d5, v12
	v_mov_b32_e32 v28, v27
	v_fmac_f32_e32 v28, 0xbf7ba420, v6
	v_fmac_f32_e32 v38, 0x3f7ee86f, v13
	v_add_f32_e32 v28, v28, v30
	v_mul_f32_e32 v30, 0xbf7ba420, v7
	v_add_f32_e32 v33, v38, v33
	v_mov_b32_e32 v38, v30
	v_fma_f32 v27, v6, s15, -v27
	v_fmac_f32_e32 v30, 0xbe3c28d5, v13
	v_add_f32_e32 v27, v27, v29
	v_add_f32_e32 v29, v30, v31
	v_mul_f32_e32 v30, 0x3f763a35, v12
	v_mov_b32_e32 v31, v30
	v_fmac_f32_e32 v31, 0xbe8c1d8e, v6
	v_fmac_f32_e32 v38, 0x3e3c28d5, v13
	v_add_f32_e32 v31, v31, v34
	v_mul_f32_e32 v34, 0xbe8c1d8e, v7
	v_add_f32_e32 v35, v38, v35
	v_mov_b32_e32 v38, v34
	v_fma_f32 v30, v6, s7, -v30
	v_fmac_f32_e32 v34, 0x3f763a35, v13
	v_add_f32_e32 v30, v30, v32
	v_add_f32_e32 v32, v34, v36
	v_mul_f32_e32 v34, 0x3eb8f4ab, v12
	v_fmac_f32_e32 v38, 0xbf763a35, v13
	v_mov_b32_e32 v36, v34
	v_fma_f32 v34, v6, s12, -v34
	v_add_f32_e32 v37, v38, v37
	v_fmac_f32_e32 v36, 0x3f6eb680, v6
	v_mul_f32_e32 v38, 0x3f6eb680, v7
	v_add_f32_e32 v34, v34, v40
	v_mul_f32_e32 v40, 0xbf65296c, v12
	v_add_f32_e32 v36, v36, v41
	v_mov_b32_e32 v39, v38
	v_fmac_f32_e32 v38, 0x3eb8f4ab, v13
	v_mov_b32_e32 v41, v40
	v_fma_f32 v40, v6, s5, -v40
	v_fmac_f32_e32 v39, 0xbeb8f4ab, v13
	v_add_f32_e32 v38, v38, v42
	v_fmac_f32_e32 v41, 0x3ee437d1, v6
	v_mul_f32_e32 v42, 0x3ee437d1, v7
	v_add_f32_e32 v40, v40, v46
	v_mul_f32_e32 v46, 0xbf06c442, v12
	v_add_f32_e32 v39, v39, v43
	v_add_f32_e32 v41, v41, v47
	v_mov_b32_e32 v43, v42
	v_fmac_f32_e32 v42, 0xbf65296c, v13
	v_mov_b32_e32 v47, v46
	v_fma_f32 v46, v6, s14, -v46
	v_fmac_f32_e32 v43, 0x3f65296c, v13
	v_add_f32_e32 v42, v42, v50
	v_fmac_f32_e32 v47, 0xbf59a7d5, v6
	v_mul_f32_e32 v50, 0xbf59a7d5, v7
	v_add_f32_e32 v46, v46, v52
	v_mul_f32_e32 v52, 0x3f4c4adb, v12
	v_add_f32_e32 v43, v43, v51
	v_add_f32_e32 v47, v47, v53
	v_mov_b32_e32 v51, v50
	v_fmac_f32_e32 v50, 0xbf06c442, v13
	v_mov_b32_e32 v53, v52
	v_fmac_f32_e32 v51, 0x3f06c442, v13
	v_add_f32_e32 v50, v50, v54
	v_fmac_f32_e32 v53, 0xbf1a4643, v6
	v_mul_f32_e32 v54, 0xbf1a4643, v7
	v_fma_f32 v52, v6, s13, -v52
	v_mul_f32_e32 v12, 0x3f2c7751, v12
	v_mul_f32_e32 v7, 0x3f3d2fb0, v7
	v_add_f32_e32 v51, v51, v55
	v_add_f32_e32 v53, v53, v57
	v_mov_b32_e32 v55, v54
	v_add_f32_e32 v52, v52, v56
	v_mov_b32_e32 v56, v12
	v_mov_b32_e32 v57, v7
	v_fmac_f32_e32 v55, 0xbf4c4adb, v13
	v_fmac_f32_e32 v54, 0x3f4c4adb, v13
	;; [unrolled: 1-line block ×4, first 2 shown]
	v_fma_f32 v6, v6, s6, -v12
	v_fmac_f32_e32 v7, 0x3f2c7751, v13
	v_sub_f32_e32 v13, v26, v22
	v_add_f32_e32 v4, v6, v4
	v_add_f32_e32 v6, v25, v21
	v_sub_f32_e32 v12, v25, v21
	v_mul_f32_e32 v21, 0xbf763a35, v13
	v_add_f32_e32 v5, v7, v5
	v_add_f32_e32 v7, v26, v22
	v_mov_b32_e32 v22, v21
	v_fmac_f32_e32 v22, 0xbe8c1d8e, v6
	v_add_f32_e32 v22, v22, v23
	v_mul_f32_e32 v23, 0xbe8c1d8e, v7
	v_fma_f32 v21, v6, s7, -v21
	v_mov_b32_e32 v25, v23
	v_add_f32_e32 v14, v21, v14
	v_fmac_f32_e32 v23, 0xbf763a35, v12
	v_mul_f32_e32 v21, 0x3f06c442, v13
	v_add_f32_e32 v15, v23, v15
	v_mov_b32_e32 v23, v21
	v_fmac_f32_e32 v23, 0xbf59a7d5, v6
	v_mul_f32_e32 v26, 0xbf59a7d5, v7
	v_fma_f32 v21, v6, s14, -v21
	v_add_f32_e32 v23, v23, v28
	v_mov_b32_e32 v28, v26
	v_add_f32_e32 v21, v21, v27
	v_fmac_f32_e32 v26, 0x3f06c442, v12
	v_mul_f32_e32 v27, 0x3f2c7751, v13
	v_add_f32_e32 v26, v26, v29
	v_mov_b32_e32 v29, v27
	v_fmac_f32_e32 v29, 0x3f3d2fb0, v6
	v_fmac_f32_e32 v25, 0x3f763a35, v12
	v_add_f32_e32 v29, v29, v31
	v_mul_f32_e32 v31, 0x3f3d2fb0, v7
	v_add_f32_e32 v25, v25, v33
	v_mov_b32_e32 v33, v31
	v_fma_f32 v27, v6, s6, -v27
	v_fmac_f32_e32 v31, 0x3f2c7751, v12
	v_add_f32_e32 v27, v27, v30
	v_add_f32_e32 v30, v31, v32
	v_mul_f32_e32 v31, 0xbf65296c, v13
	v_fmac_f32_e32 v28, 0xbf06c442, v12
	v_mov_b32_e32 v32, v31
	v_add_f32_e32 v28, v28, v35
	v_fmac_f32_e32 v32, 0x3ee437d1, v6
	v_mul_f32_e32 v35, 0x3ee437d1, v7
	v_add_f32_e32 v32, v32, v36
	v_mov_b32_e32 v36, v35
	v_fma_f32 v31, v6, s5, -v31
	v_fmac_f32_e32 v35, 0xbf65296c, v12
	v_fmac_f32_e32 v33, 0xbf2c7751, v12
	v_add_f32_e32 v31, v31, v34
	v_add_f32_e32 v34, v35, v38
	v_mul_f32_e32 v35, 0xbe3c28d5, v13
	v_add_f32_e32 v33, v33, v37
	v_mov_b32_e32 v37, v35
	v_fma_f32 v35, v6, s15, -v35
	v_fmac_f32_e32 v36, 0x3f65296c, v12
	v_fmac_f32_e32 v37, 0xbf7ba420, v6
	v_mul_f32_e32 v38, 0xbf7ba420, v7
	v_add_f32_e32 v35, v35, v40
	v_mul_f32_e32 v40, 0x3f7ee86f, v13
	v_add_f32_e32 v36, v36, v39
	v_add_f32_e32 v37, v37, v41
	v_mov_b32_e32 v39, v38
	v_fmac_f32_e32 v38, 0xbe3c28d5, v12
	v_mov_b32_e32 v41, v40
	v_fma_f32 v40, v6, s4, -v40
	v_fmac_f32_e32 v39, 0x3e3c28d5, v12
	v_add_f32_e32 v38, v38, v42
	v_fmac_f32_e32 v41, 0x3dbcf732, v6
	v_mul_f32_e32 v42, 0x3dbcf732, v7
	v_add_f32_e32 v40, v40, v46
	v_mul_f32_e32 v46, 0xbeb8f4ab, v13
	v_add_f32_e32 v39, v39, v43
	v_add_f32_e32 v41, v41, v47
	v_mov_b32_e32 v43, v42
	v_fmac_f32_e32 v42, 0x3f7ee86f, v12
	v_mov_b32_e32 v47, v46
	v_fma_f32 v46, v6, s12, -v46
	v_mul_f32_e32 v13, 0xbf4c4adb, v13
	v_fmac_f32_e32 v43, 0xbf7ee86f, v12
	v_add_f32_e32 v42, v42, v50
	v_fmac_f32_e32 v47, 0x3f6eb680, v6
	v_mul_f32_e32 v50, 0x3f6eb680, v7
	v_add_f32_e32 v46, v46, v52
	v_mov_b32_e32 v52, v13
	v_mul_f32_e32 v7, 0xbf1a4643, v7
	v_add_f32_e32 v43, v43, v51
	v_add_f32_e32 v47, v47, v53
	v_mov_b32_e32 v51, v50
	v_fmac_f32_e32 v52, 0xbf1a4643, v6
	v_mov_b32_e32 v53, v7
	v_fma_f32 v6, v6, s13, -v13
	v_sub_f32_e32 v13, v19, v20
	v_fmac_f32_e32 v51, 0x3eb8f4ab, v12
	v_fmac_f32_e32 v50, 0xbeb8f4ab, v12
	;; [unrolled: 1-line block ×3, first 2 shown]
	v_add_f32_e32 v4, v6, v4
	v_fmac_f32_e32 v7, 0xbf4c4adb, v12
	v_add_f32_e32 v6, v18, v24
	v_sub_f32_e32 v12, v18, v24
	v_mul_f32_e32 v18, 0xbf4c4adb, v13
	v_add_f32_e32 v5, v7, v5
	v_add_f32_e32 v7, v19, v20
	v_mov_b32_e32 v19, v18
	v_fmac_f32_e32 v19, 0xbf1a4643, v6
	v_mul_f32_e32 v20, 0xbf1a4643, v7
	v_fma_f32 v18, v6, s13, -v18
	v_add_f32_e32 v19, v19, v22
	v_mov_b32_e32 v22, v20
	v_add_f32_e32 v14, v18, v14
	v_fmac_f32_e32 v20, 0xbf4c4adb, v12
	v_mul_f32_e32 v18, 0x3f763a35, v13
	v_add_f32_e32 v15, v20, v15
	v_mov_b32_e32 v20, v18
	v_fmac_f32_e32 v20, 0xbe8c1d8e, v6
	v_add_f32_e32 v20, v20, v23
	v_mul_f32_e32 v23, 0xbe8c1d8e, v7
	v_mov_b32_e32 v24, v23
	v_fma_f32 v18, v6, s7, -v18
	v_fmac_f32_e32 v23, 0x3f763a35, v12
	v_fmac_f32_e32 v22, 0x3f4c4adb, v12
	v_add_f32_e32 v18, v18, v21
	v_add_f32_e32 v21, v23, v26
	v_mul_f32_e32 v23, 0xbeb8f4ab, v13
	v_add_f32_e32 v22, v22, v25
	v_mov_b32_e32 v25, v23
	v_fma_f32 v23, v6, s12, -v23
	v_fmac_f32_e32 v24, 0xbf763a35, v12
	v_fmac_f32_e32 v25, 0x3f6eb680, v6
	v_mul_f32_e32 v26, 0x3f6eb680, v7
	v_add_f32_e32 v23, v23, v27
	v_mul_f32_e32 v27, 0xbf06c442, v13
	v_add_f32_e32 v24, v24, v28
	v_add_f32_e32 v25, v25, v29
	v_mov_b32_e32 v28, v26
	v_fmac_f32_e32 v26, 0xbeb8f4ab, v12
	v_mov_b32_e32 v29, v27
	v_fma_f32 v27, v6, s14, -v27
	v_fmac_f32_e32 v28, 0x3eb8f4ab, v12
	v_add_f32_e32 v26, v26, v30
	v_fmac_f32_e32 v29, 0xbf59a7d5, v6
	v_mul_f32_e32 v30, 0xbf59a7d5, v7
	v_add_f32_e32 v27, v27, v31
	v_mul_f32_e32 v31, 0x3f7ee86f, v13
	v_add_f32_e32 v28, v28, v33
	v_add_f32_e32 v29, v29, v32
	v_mov_b32_e32 v32, v30
	v_fmac_f32_e32 v30, 0xbf06c442, v12
	v_mov_b32_e32 v33, v31
	v_fma_f32 v31, v6, s4, -v31
	v_fmac_f32_e32 v32, 0x3f06c442, v12
	v_add_f32_e32 v30, v30, v34
	;; [unrolled: 12-line block ×3, first 2 shown]
	v_fmac_f32_e32 v37, 0x3f3d2fb0, v6
	v_mul_f32_e32 v38, 0x3f3d2fb0, v7
	v_add_f32_e32 v35, v35, v40
	v_mul_f32_e32 v40, 0xbe3c28d5, v13
	v_add_f32_e32 v36, v36, v39
	v_add_f32_e32 v37, v37, v41
	v_mov_b32_e32 v39, v38
	v_fmac_f32_e32 v38, 0xbf2c7751, v12
	v_mov_b32_e32 v41, v40
	v_add_f32_e32 v38, v38, v42
	v_fmac_f32_e32 v41, 0xbf7ba420, v6
	v_mul_f32_e32 v42, 0xbf7ba420, v7
	v_fma_f32 v40, v6, s15, -v40
	v_mul_f32_e32 v13, 0x3f65296c, v13
	v_mul_f32_e32 v7, 0x3ee437d1, v7
	v_fmac_f32_e32 v39, 0x3f2c7751, v12
	v_add_f32_e32 v41, v41, v47
	v_add_f32_e32 v40, v40, v46
	v_mov_b32_e32 v46, v13
	v_mov_b32_e32 v47, v7
	v_fmac_f32_e32 v7, 0x3f65296c, v12
	v_add_f32_e32 v39, v39, v43
	v_mov_b32_e32 v43, v42
	v_fmac_f32_e32 v46, 0x3ee437d1, v6
	v_fma_f32 v6, v6, s5, -v13
	v_add_f32_e32 v5, v7, v5
	v_add_f32_e32 v7, v11, v17
	v_sub_f32_e32 v11, v11, v17
	v_fmac_f32_e32 v43, 0x3e3c28d5, v12
	v_fmac_f32_e32 v42, 0xbe3c28d5, v12
	;; [unrolled: 1-line block ×3, first 2 shown]
	v_add_f32_e32 v4, v6, v4
	v_add_f32_e32 v6, v10, v16
	v_sub_f32_e32 v10, v10, v16
	v_mul_f32_e32 v12, 0xbf06c442, v11
	v_mul_f32_e32 v16, 0xbf59a7d5, v7
	v_mov_b32_e32 v13, v12
	v_mov_b32_e32 v17, v16
	v_fma_f32 v12, v6, s14, -v12
	v_fmac_f32_e32 v16, 0xbf06c442, v10
	v_add_f32_e32 v12, v12, v14
	v_add_f32_e32 v14, v16, v15
	v_mul_f32_e32 v15, 0x3f65296c, v11
	v_fmac_f32_e32 v13, 0xbf59a7d5, v6
	v_mov_b32_e32 v16, v15
	v_add_f32_e32 v13, v13, v19
	v_fmac_f32_e32 v16, 0x3ee437d1, v6
	v_mul_f32_e32 v19, 0x3ee437d1, v7
	v_fmac_f32_e32 v17, 0x3f06c442, v10
	v_add_f32_e32 v16, v16, v20
	v_mov_b32_e32 v20, v19
	v_fma_f32 v15, v6, s5, -v15
	v_fmac_f32_e32 v19, 0x3f65296c, v10
	v_add_f32_e32 v17, v17, v22
	v_fmac_f32_e32 v20, 0xbf65296c, v10
	v_add_f32_e32 v15, v15, v18
	v_add_f32_e32 v18, v19, v21
	v_mul_f32_e32 v19, 0xbf7ee86f, v11
	v_mul_f32_e32 v22, 0x3dbcf732, v7
	v_add_f32_e32 v20, v20, v24
	v_mov_b32_e32 v21, v19
	v_mov_b32_e32 v24, v22
	v_fma_f32 v19, v6, s4, -v19
	v_fmac_f32_e32 v22, 0xbf7ee86f, v10
	v_fmac_f32_e32 v21, 0x3dbcf732, v6
	;; [unrolled: 1-line block ×3, first 2 shown]
	v_add_f32_e32 v19, v19, v23
	v_add_f32_e32 v22, v22, v26
	v_mul_f32_e32 v23, 0x3f4c4adb, v11
	v_mul_f32_e32 v26, 0xbf1a4643, v7
	v_add_f32_e32 v21, v21, v25
	v_add_f32_e32 v24, v24, v28
	v_mov_b32_e32 v25, v23
	v_mov_b32_e32 v28, v26
	v_fma_f32 v23, v6, s13, -v23
	v_fmac_f32_e32 v26, 0x3f4c4adb, v10
	v_fmac_f32_e32 v25, 0xbf1a4643, v6
	;; [unrolled: 1-line block ×3, first 2 shown]
	v_add_f32_e32 v23, v23, v27
	v_add_f32_e32 v26, v26, v30
	v_mul_f32_e32 v27, 0xbeb8f4ab, v11
	v_mul_f32_e32 v30, 0x3f6eb680, v7
	v_add_f32_e32 v25, v25, v29
	v_add_f32_e32 v28, v28, v32
	v_mov_b32_e32 v29, v27
	v_mov_b32_e32 v32, v30
	v_fma_f32 v27, v6, s12, -v27
	v_fmac_f32_e32 v32, 0x3eb8f4ab, v10
	v_add_f32_e32 v27, v27, v31
	v_mul_f32_e32 v31, 0xbe3c28d5, v11
	v_add_f32_e32 v36, v32, v36
	v_mov_b32_e32 v32, v31
	v_fmac_f32_e32 v30, 0xbeb8f4ab, v10
	v_fmac_f32_e32 v32, 0xbf7ba420, v6
	;; [unrolled: 1-line block ×3, first 2 shown]
	v_add_f32_e32 v30, v30, v34
	v_add_f32_e32 v34, v32, v37
	v_mul_f32_e32 v32, 0xbf7ba420, v7
	v_add_f32_e32 v29, v29, v33
	v_mov_b32_e32 v33, v32
	v_fma_f32 v31, v6, s15, -v31
	v_fmac_f32_e32 v32, 0xbe3c28d5, v10
	v_add_f32_e32 v62, v62, v119
	v_add_f32_e32 v117, v117, v123
	v_fmac_f32_e32 v33, 0x3e3c28d5, v10
	v_add_f32_e32 v31, v31, v35
	v_add_f32_e32 v35, v32, v38
	v_mul_f32_e32 v32, 0x3f2c7751, v11
	v_add_f32_e32 v58, v58, v62
	v_add_f32_e32 v60, v60, v117
	;; [unrolled: 1-line block ×3, first 2 shown]
	v_mov_b32_e32 v33, v32
	v_add_f32_e32 v63, v63, v120
	v_add_f32_e32 v118, v118, v124
	;; [unrolled: 1-line block ×4, first 2 shown]
	v_fmac_f32_e32 v33, 0x3f3d2fb0, v6
	v_fma_f32 v32, v6, s6, -v32
	v_mul_f32_e32 v11, 0xbf763a35, v11
	v_add_f32_e32 v59, v59, v63
	v_add_f32_e32 v61, v61, v118
	;; [unrolled: 1-line block ×5, first 2 shown]
	v_mul_f32_e32 v33, 0x3f3d2fb0, v7
	v_add_f32_e32 v40, v32, v40
	v_mov_b32_e32 v32, v11
	v_add_f32_e32 v55, v55, v59
	v_add_f32_e32 v57, v57, v61
	;; [unrolled: 1-line block ×4, first 2 shown]
	v_mov_b32_e32 v39, v33
	v_fmac_f32_e32 v33, 0x3f2c7751, v10
	v_fmac_f32_e32 v32, 0xbe8c1d8e, v6
	v_mul_f32_e32 v7, 0xbe8c1d8e, v7
	v_add_f32_e32 v51, v51, v55
	v_add_f32_e32 v53, v53, v57
	v_add_f32_e32 v41, v33, v42
	v_add_f32_e32 v42, v32, v46
	v_mov_b32_e32 v32, v7
	v_add_f32_e32 v43, v43, v51
	v_add_f32_e32 v47, v47, v53
	v_fmac_f32_e32 v39, 0xbf2c7751, v10
	v_fmac_f32_e32 v32, 0x3f763a35, v10
	v_fma_f32 v6, v6, s7, -v11
	v_fmac_f32_e32 v7, 0xbf763a35, v10
	v_add_f32_e32 v51, v2, v9
	v_sub_f32_e32 v53, v2, v9
	v_add_f32_e32 v39, v39, v43
	v_add_f32_e32 v43, v32, v47
	;; [unrolled: 1-line block ×5, first 2 shown]
	v_sub_f32_e32 v52, v8, v3
	v_mul_f32_e32 v4, 0xbe3c28d5, v53
	v_mul_f32_e32 v5, 0xbf7ba420, v51
	v_mov_b32_e32 v2, v4
	v_mov_b32_e32 v3, v5
	v_fma_f32 v4, v50, s15, -v4
	v_fmac_f32_e32 v5, 0xbe3c28d5, v52
	v_mul_f32_e32 v6, 0x3eb8f4ab, v53
	v_mul_f32_e32 v7, 0x3f6eb680, v51
	;; [unrolled: 1-line block ×4, first 2 shown]
	v_add_f32_e32 v32, v4, v12
	v_add_f32_e32 v33, v5, v14
	v_mov_b32_e32 v4, v6
	v_mov_b32_e32 v5, v7
	v_fma_f32 v6, v50, s12, -v6
	v_fmac_f32_e32 v7, 0x3eb8f4ab, v52
	v_mov_b32_e32 v8, v10
	v_mov_b32_e32 v9, v11
	v_fma_f32 v10, v50, s14, -v10
	v_fmac_f32_e32 v11, 0xbf06c442, v52
	v_fmac_f32_e32 v2, 0xbf7ba420, v50
	;; [unrolled: 1-line block ×5, first 2 shown]
	v_add_f32_e32 v6, v6, v15
	v_add_f32_e32 v7, v7, v18
	;; [unrolled: 1-line block ×4, first 2 shown]
	v_mul_f32_e32 v14, 0x3f2c7751, v53
	v_mul_f32_e32 v15, 0x3f3d2fb0, v51
	;; [unrolled: 1-line block ×5, first 2 shown]
	v_add_f32_e32 v2, v2, v13
	v_add_f32_e32 v3, v3, v17
	;; [unrolled: 1-line block ×4, first 2 shown]
	v_mov_b32_e32 v12, v14
	v_mov_b32_e32 v13, v15
	v_fma_f32 v14, v50, s6, -v14
	v_fmac_f32_e32 v15, 0x3f2c7751, v52
	v_mov_b32_e32 v16, v18
	v_mov_b32_e32 v17, v19
	v_fma_f32 v18, v50, s13, -v18
	v_fmac_f32_e32 v19, 0xbf4c4adb, v52
	v_mov_b32_e32 v20, v22
	v_fma_f32 v22, v50, s5, -v22
	v_fmac_f32_e32 v8, 0xbf59a7d5, v50
	v_fmac_f32_e32 v9, 0x3f06c442, v52
	;; [unrolled: 1-line block ×4, first 2 shown]
	v_add_f32_e32 v14, v14, v23
	v_add_f32_e32 v15, v15, v26
	v_fmac_f32_e32 v16, 0xbf1a4643, v50
	v_add_f32_e32 v18, v18, v27
	v_add_f32_e32 v19, v19, v30
	v_mul_f32_e32 v23, 0x3ee437d1, v51
	v_add_f32_e32 v22, v22, v31
	v_mul_f32_e32 v26, 0xbf763a35, v53
	v_mul_f32_e32 v27, 0xbe8c1d8e, v51
	;; [unrolled: 1-line block ×4, first 2 shown]
	v_add_f32_e32 v8, v8, v21
	v_add_f32_e32 v9, v9, v24
	;; [unrolled: 1-line block ×5, first 2 shown]
	v_mov_b32_e32 v21, v23
	v_mov_b32_e32 v24, v26
	;; [unrolled: 1-line block ×5, first 2 shown]
	v_fmac_f32_e32 v20, 0x3ee437d1, v50
	v_fmac_f32_e32 v21, 0xbf65296c, v52
	;; [unrolled: 1-line block ×5, first 2 shown]
	v_fma_f32 v26, v50, s7, -v26
	v_fmac_f32_e32 v27, 0xbf763a35, v52
	v_fmac_f32_e32 v28, 0x3dbcf732, v50
	;; [unrolled: 1-line block ×3, first 2 shown]
	v_fma_f32 v30, v50, s4, -v30
	v_fmac_f32_e32 v31, 0x3f7ee86f, v52
	v_fmac_f32_e32 v17, 0x3f4c4adb, v52
	v_add_f32_e32 v20, v20, v34
	v_add_f32_e32 v21, v21, v37
	;; [unrolled: 1-line block ×12, first 2 shown]
	s_barrier
	ds_write2_b64 v125, v[0:1], v[2:3] offset1:17
	ds_write2_b64 v125, v[4:5], v[8:9] offset0:34 offset1:51
	ds_write2_b64 v125, v[12:13], v[16:17] offset0:68 offset1:85
	;; [unrolled: 1-line block ×7, first 2 shown]
	ds_write_b64 v125, v[32:33] offset:2176
	s_waitcnt lgkmcnt(0)
	s_barrier
	ds_read2_b64 v[12:15], v121 offset1:34
	ds_read2_b64 v[28:31], v49 offset0:33 offset1:67
	ds_read2_b64 v[8:11], v121 offset0:68 offset1:102
	;; [unrolled: 1-line block ×6, first 2 shown]
	v_add_u32_e32 v16, 0xc00, v121
	ds_read2_b64 v[16:19], v16 offset0:109 offset1:143
	v_add_u32_e32 v35, 0x660, v121
	v_add_u32_e32 v34, 0x770, v121
	s_and_saveexec_b64 s[4:5], s[0:1]
	s_cbranch_execz .LBB0_7
; %bb.6:
	ds_read_b64 v[32:33], v121 offset:2176
	ds_read_b64 v[44:45], v121 offset:4488
.LBB0_7:
	s_or_b64 exec, exec, s[4:5]
	s_waitcnt lgkmcnt(6)
	v_mul_f32_e32 v36, v102, v29
	v_fmac_f32_e32 v36, v101, v28
	v_mul_f32_e32 v28, v102, v28
	v_fma_f32 v28, v101, v29, -v28
	v_mul_f32_e32 v29, v104, v31
	v_fmac_f32_e32 v29, v103, v30
	v_mul_f32_e32 v30, v104, v30
	v_fma_f32 v30, v103, v31, -v30
	s_waitcnt lgkmcnt(4)
	v_mul_f32_e32 v31, v106, v25
	v_fmac_f32_e32 v31, v105, v24
	v_mul_f32_e32 v24, v106, v24
	v_fma_f32 v24, v105, v25, -v24
	v_mul_f32_e32 v25, v108, v27
	v_fmac_f32_e32 v25, v107, v26
	v_mul_f32_e32 v26, v108, v26
	v_fma_f32 v26, v107, v27, -v26
	s_waitcnt lgkmcnt(2)
	v_mul_f32_e32 v27, v110, v21
	s_waitcnt lgkmcnt(0)
	v_mul_f32_e32 v40, v114, v17
	v_fmac_f32_e32 v27, v109, v20
	v_mul_f32_e32 v20, v110, v20
	v_fmac_f32_e32 v40, v113, v16
	v_mul_f32_e32 v16, v114, v16
	v_fma_f32 v37, v109, v21, -v20
	v_mul_f32_e32 v38, v112, v23
	v_mul_f32_e32 v20, v112, v22
	v_fma_f32 v41, v113, v17, -v16
	v_mul_f32_e32 v42, v116, v19
	v_mul_f32_e32 v16, v116, v18
	v_fmac_f32_e32 v38, v111, v22
	v_fma_f32 v39, v111, v23, -v20
	v_fmac_f32_e32 v42, v115, v18
	v_fma_f32 v43, v115, v19, -v16
	v_sub_f32_e32 v16, v12, v36
	v_sub_f32_e32 v17, v13, v28
	v_fma_f32 v12, v12, 2.0, -v16
	v_fma_f32 v13, v13, 2.0, -v17
	v_sub_f32_e32 v18, v14, v29
	v_sub_f32_e32 v19, v15, v30
	;; [unrolled: 1-line block ×14, first 2 shown]
	v_fma_f32 v14, v14, 2.0, -v18
	v_fma_f32 v15, v15, 2.0, -v19
	;; [unrolled: 1-line block ×14, first 2 shown]
	ds_write_b64 v121, v[12:13]
	ds_write_b64 v48, v[16:17] offset:2312
	ds_write_b64 v121, v[14:15] offset:272
	ds_write_b64 v48, v[18:19] offset:2584
	ds_write_b64 v121, v[8:9] offset:544
	ds_write_b64 v48, v[20:21] offset:2856
	ds_write_b64 v121, v[10:11] offset:816
	ds_write_b64 v48, v[22:23] offset:3128
	ds_write_b64 v121, v[4:5] offset:1088
	ds_write_b64 v48, v[24:25] offset:3400
	ds_write_b64 v121, v[6:7] offset:1360
	ds_write_b64 v48, v[26:27] offset:3672
	ds_write_b64 v35, v[28:29] offset:2312
	ds_write2_b64 v121, v[0:1], v[2:3] offset0:204 offset1:238
	ds_write_b64 v34, v[30:31] offset:2312
	s_and_saveexec_b64 s[4:5], s[0:1]
	s_cbranch_execz .LBB0_9
; %bb.8:
	v_mul_f32_e32 v0, v100, v44
	v_fma_f32 v0, v99, v45, -v0
	v_sub_f32_e32 v1, v33, v0
	v_mul_f32_e32 v0, v100, v45
	v_fmac_f32_e32 v0, v99, v44
	v_sub_f32_e32 v0, v32, v0
	v_fma_f32 v3, v33, 2.0, -v1
	v_fma_f32 v2, v32, 2.0, -v0
	ds_write_b64 v121, v[2:3] offset:2176
	ds_write_b64 v48, v[0:1] offset:4488
.LBB0_9:
	s_or_b64 exec, exec, s[4:5]
	s_waitcnt lgkmcnt(0)
	s_barrier
	ds_read2_b64 v[0:3], v121 offset1:34
	v_mad_u64_u32 v[4:5], s[0:1], s10, v80, 0
	s_mov_b32 s0, 0xd10d4986
	s_mov_b32 s1, 0x3f5c5894
	s_waitcnt lgkmcnt(0)
	v_mul_f32_e32 v6, v98, v1
	v_fmac_f32_e32 v6, v97, v0
	v_cvt_f64_f32_e32 v[6:7], v6
	v_mul_f32_e32 v0, v98, v0
	v_fma_f32 v0, v97, v1, -v0
	v_cvt_f64_f32_e32 v[0:1], v0
	v_mul_f64 v[6:7], v[6:7], s[0:1]
	v_mad_u64_u32 v[8:9], s[4:5], s8, v122, 0
	v_mul_f64 v[0:1], v[0:1], s[0:1]
	v_add_u32_e32 v13, 0x800, v121
	v_mad_u64_u32 v[10:11], s[4:5], s11, v80, v[5:6]
	v_mov_b32_e32 v5, v9
	v_mad_u64_u32 v[11:12], s[4:5], s9, v122, v[5:6]
	v_mov_b32_e32 v5, v10
	v_cvt_f32_f64_e32 v6, v[6:7]
	v_cvt_f32_f64_e32 v7, v[0:1]
	v_lshlrev_b64 v[0:1], 3, v[4:5]
	v_mul_f32_e32 v4, v96, v3
	v_fmac_f32_e32 v4, v95, v2
	v_mul_f32_e32 v2, v96, v2
	v_fma_f32 v2, v95, v3, -v2
	v_mov_b32_e32 v9, v11
	v_mov_b32_e32 v10, s3
	v_cvt_f64_f32_e32 v[2:3], v2
	v_add_co_u32_e32 v11, vcc, s2, v0
	v_addc_co_u32_e32 v12, vcc, v10, v1, vcc
	v_lshlrev_b64 v[0:1], 3, v[8:9]
	v_mul_f64 v[8:9], v[2:3], s[0:1]
	v_add_co_u32_e32 v10, vcc, v11, v0
	v_addc_co_u32_e32 v11, vcc, v12, v1, vcc
	ds_read2_b64 v[0:3], v121 offset0:68 offset1:102
	v_cvt_f64_f32_e32 v[4:5], v4
	global_store_dwordx2 v[10:11], v[6:7], off
	s_mul_i32 s2, s9, 0x110
	s_mul_hi_u32 s3, s8, 0x110
	s_waitcnt lgkmcnt(0)
	v_mul_f32_e32 v6, v92, v1
	v_fmac_f32_e32 v6, v91, v0
	v_mul_f32_e32 v0, v92, v0
	v_fma_f32 v0, v91, v1, -v0
	v_mul_f64 v[4:5], v[4:5], s[0:1]
	v_cvt_f64_f32_e32 v[0:1], v0
	v_cvt_f64_f32_e32 v[6:7], v6
	s_add_i32 s2, s3, s2
	s_mul_i32 s3, s8, 0x110
	v_mul_f64 v[0:1], v[0:1], s[0:1]
	v_mul_f64 v[6:7], v[6:7], s[0:1]
	v_mov_b32_e32 v12, s2
	v_cvt_f32_f64_e32 v4, v[4:5]
	v_cvt_f32_f64_e32 v5, v[8:9]
	v_mov_b32_e32 v9, s2
	v_add_co_u32_e32 v8, vcc, s3, v10
	v_addc_co_u32_e32 v9, vcc, v11, v9, vcc
	global_store_dwordx2 v[8:9], v[4:5], off
	v_cvt_f32_f64_e32 v5, v[0:1]
	v_mul_f32_e32 v0, v88, v3
	v_fmac_f32_e32 v0, v87, v2
	v_cvt_f32_f64_e32 v4, v[6:7]
	v_cvt_f64_f32_e32 v[6:7], v0
	v_mul_f32_e32 v0, v88, v2
	v_fma_f32 v0, v87, v3, -v0
	v_cvt_f64_f32_e32 v[10:11], v0
	ds_read2_b64 v[0:3], v121 offset0:136 offset1:170
	v_add_co_u32_e32 v8, vcc, s3, v8
	v_addc_co_u32_e32 v9, vcc, v9, v12, vcc
	global_store_dwordx2 v[8:9], v[4:5], off
	v_mul_f64 v[4:5], v[6:7], s[0:1]
	v_mul_f64 v[6:7], v[10:11], s[0:1]
	s_waitcnt lgkmcnt(0)
	v_mul_f32_e32 v10, v94, v1
	v_fmac_f32_e32 v10, v93, v0
	v_mul_f32_e32 v0, v94, v0
	v_fma_f32 v0, v93, v1, -v0
	v_cvt_f64_f32_e32 v[0:1], v0
	v_cvt_f64_f32_e32 v[10:11], v10
	v_cvt_f32_f64_e32 v4, v[4:5]
	v_cvt_f32_f64_e32 v5, v[6:7]
	v_mul_f64 v[0:1], v[0:1], s[0:1]
	v_mul_f64 v[6:7], v[10:11], s[0:1]
	v_mov_b32_e32 v10, s2
	v_add_co_u32_e32 v8, vcc, s3, v8
	v_addc_co_u32_e32 v9, vcc, v9, v10, vcc
	global_store_dwordx2 v[8:9], v[4:5], off
	v_cvt_f32_f64_e32 v5, v[0:1]
	v_mul_f32_e32 v0, v90, v3
	v_fmac_f32_e32 v0, v89, v2
	v_cvt_f32_f64_e32 v4, v[6:7]
	v_cvt_f64_f32_e32 v[6:7], v0
	v_mul_f32_e32 v0, v90, v2
	v_fma_f32 v0, v89, v3, -v0
	v_cvt_f64_f32_e32 v[10:11], v0
	ds_read2_b64 v[0:3], v121 offset0:204 offset1:238
	v_add_co_u32_e32 v8, vcc, s3, v8
	v_addc_co_u32_e32 v9, vcc, v9, v12, vcc
	global_store_dwordx2 v[8:9], v[4:5], off
	v_mul_f64 v[4:5], v[6:7], s[0:1]
	v_mul_f64 v[6:7], v[10:11], s[0:1]
	s_waitcnt lgkmcnt(0)
	v_mul_f32_e32 v10, v84, v1
	v_fmac_f32_e32 v10, v83, v0
	v_mul_f32_e32 v0, v84, v0
	v_fma_f32 v0, v83, v1, -v0
	v_cvt_f64_f32_e32 v[0:1], v0
	v_cvt_f64_f32_e32 v[10:11], v10
	v_cvt_f32_f64_e32 v4, v[4:5]
	v_cvt_f32_f64_e32 v5, v[6:7]
	v_mul_f64 v[0:1], v[0:1], s[0:1]
	v_mul_f64 v[6:7], v[10:11], s[0:1]
	;; [unrolled: 29-line block ×6, first 2 shown]
	v_mov_b32_e32 v10, s2
	v_add_co_u32_e32 v8, vcc, s3, v8
	v_addc_co_u32_e32 v9, vcc, v9, v10, vcc
	global_store_dwordx2 v[8:9], v[4:5], off
	v_cvt_f32_f64_e32 v5, v[0:1]
	v_mul_f32_e32 v0, v67, v3
	v_fmac_f32_e32 v0, v66, v2
	v_mul_f32_e32 v2, v67, v2
	v_fma_f32 v2, v66, v3, -v2
	v_cvt_f32_f64_e32 v4, v[6:7]
	v_cvt_f64_f32_e32 v[0:1], v0
	v_cvt_f64_f32_e32 v[2:3], v2
	ds_read_b64 v[6:7], v121 offset:4352
	v_add_co_u32_e32 v8, vcc, s3, v8
	v_addc_co_u32_e32 v9, vcc, v9, v10, vcc
	v_mul_f64 v[0:1], v[0:1], s[0:1]
	v_mul_f64 v[2:3], v[2:3], s[0:1]
	global_store_dwordx2 v[8:9], v[4:5], off
	s_waitcnt lgkmcnt(0)
	v_mul_f32_e32 v4, v65, v7
	v_fmac_f32_e32 v4, v64, v6
	v_mul_f32_e32 v6, v65, v6
	v_fma_f32 v6, v64, v7, -v6
	v_cvt_f64_f32_e32 v[4:5], v4
	v_cvt_f64_f32_e32 v[6:7], v6
	v_cvt_f32_f64_e32 v0, v[0:1]
	v_cvt_f32_f64_e32 v1, v[2:3]
	v_mul_f64 v[2:3], v[4:5], s[0:1]
	v_mul_f64 v[4:5], v[6:7], s[0:1]
	v_mov_b32_e32 v7, s2
	v_add_co_u32_e32 v6, vcc, s3, v8
	v_addc_co_u32_e32 v7, vcc, v9, v7, vcc
	global_store_dwordx2 v[6:7], v[0:1], off
	v_cvt_f32_f64_e32 v0, v[2:3]
	v_cvt_f32_f64_e32 v1, v[4:5]
	v_mov_b32_e32 v3, s2
	v_add_co_u32_e32 v2, vcc, s3, v6
	v_addc_co_u32_e32 v3, vcc, v7, v3, vcc
	global_store_dwordx2 v[2:3], v[0:1], off
.LBB0_10:
	s_endpgm
	.section	.rodata,"a",@progbits
	.p2align	6, 0x0
	.amdhsa_kernel bluestein_single_fwd_len578_dim1_sp_op_CI_CI
		.amdhsa_group_segment_fixed_size 32368
		.amdhsa_private_segment_fixed_size 0
		.amdhsa_kernarg_size 104
		.amdhsa_user_sgpr_count 6
		.amdhsa_user_sgpr_private_segment_buffer 1
		.amdhsa_user_sgpr_dispatch_ptr 0
		.amdhsa_user_sgpr_queue_ptr 0
		.amdhsa_user_sgpr_kernarg_segment_ptr 1
		.amdhsa_user_sgpr_dispatch_id 0
		.amdhsa_user_sgpr_flat_scratch_init 0
		.amdhsa_user_sgpr_private_segment_size 0
		.amdhsa_uses_dynamic_stack 0
		.amdhsa_system_sgpr_private_segment_wavefront_offset 0
		.amdhsa_system_sgpr_workgroup_id_x 1
		.amdhsa_system_sgpr_workgroup_id_y 0
		.amdhsa_system_sgpr_workgroup_id_z 0
		.amdhsa_system_sgpr_workgroup_info 0
		.amdhsa_system_vgpr_workitem_id 0
		.amdhsa_next_free_vgpr 159
		.amdhsa_next_free_sgpr 20
		.amdhsa_reserve_vcc 1
		.amdhsa_reserve_flat_scratch 0
		.amdhsa_float_round_mode_32 0
		.amdhsa_float_round_mode_16_64 0
		.amdhsa_float_denorm_mode_32 3
		.amdhsa_float_denorm_mode_16_64 3
		.amdhsa_dx10_clamp 1
		.amdhsa_ieee_mode 1
		.amdhsa_fp16_overflow 0
		.amdhsa_exception_fp_ieee_invalid_op 0
		.amdhsa_exception_fp_denorm_src 0
		.amdhsa_exception_fp_ieee_div_zero 0
		.amdhsa_exception_fp_ieee_overflow 0
		.amdhsa_exception_fp_ieee_underflow 0
		.amdhsa_exception_fp_ieee_inexact 0
		.amdhsa_exception_int_div_zero 0
	.end_amdhsa_kernel
	.text
.Lfunc_end0:
	.size	bluestein_single_fwd_len578_dim1_sp_op_CI_CI, .Lfunc_end0-bluestein_single_fwd_len578_dim1_sp_op_CI_CI
                                        ; -- End function
	.section	.AMDGPU.csdata,"",@progbits
; Kernel info:
; codeLenInByte = 25528
; NumSgprs: 24
; NumVgprs: 159
; ScratchSize: 0
; MemoryBound: 0
; FloatMode: 240
; IeeeMode: 1
; LDSByteSize: 32368 bytes/workgroup (compile time only)
; SGPRBlocks: 2
; VGPRBlocks: 39
; NumSGPRsForWavesPerEU: 24
; NumVGPRsForWavesPerEU: 159
; Occupancy: 1
; WaveLimiterHint : 1
; COMPUTE_PGM_RSRC2:SCRATCH_EN: 0
; COMPUTE_PGM_RSRC2:USER_SGPR: 6
; COMPUTE_PGM_RSRC2:TRAP_HANDLER: 0
; COMPUTE_PGM_RSRC2:TGID_X_EN: 1
; COMPUTE_PGM_RSRC2:TGID_Y_EN: 0
; COMPUTE_PGM_RSRC2:TGID_Z_EN: 0
; COMPUTE_PGM_RSRC2:TIDIG_COMP_CNT: 0
	.type	__hip_cuid_84ff878aeecb8c94,@object ; @__hip_cuid_84ff878aeecb8c94
	.section	.bss,"aw",@nobits
	.globl	__hip_cuid_84ff878aeecb8c94
__hip_cuid_84ff878aeecb8c94:
	.byte	0                               ; 0x0
	.size	__hip_cuid_84ff878aeecb8c94, 1

	.ident	"AMD clang version 19.0.0git (https://github.com/RadeonOpenCompute/llvm-project roc-6.4.0 25133 c7fe45cf4b819c5991fe208aaa96edf142730f1d)"
	.section	".note.GNU-stack","",@progbits
	.addrsig
	.addrsig_sym __hip_cuid_84ff878aeecb8c94
	.amdgpu_metadata
---
amdhsa.kernels:
  - .args:
      - .actual_access:  read_only
        .address_space:  global
        .offset:         0
        .size:           8
        .value_kind:     global_buffer
      - .actual_access:  read_only
        .address_space:  global
        .offset:         8
        .size:           8
        .value_kind:     global_buffer
      - .actual_access:  read_only
        .address_space:  global
        .offset:         16
        .size:           8
        .value_kind:     global_buffer
      - .actual_access:  read_only
        .address_space:  global
        .offset:         24
        .size:           8
        .value_kind:     global_buffer
      - .actual_access:  read_only
        .address_space:  global
        .offset:         32
        .size:           8
        .value_kind:     global_buffer
      - .offset:         40
        .size:           8
        .value_kind:     by_value
      - .address_space:  global
        .offset:         48
        .size:           8
        .value_kind:     global_buffer
      - .address_space:  global
        .offset:         56
        .size:           8
        .value_kind:     global_buffer
      - .address_space:  global
        .offset:         64
        .size:           8
        .value_kind:     global_buffer
      - .address_space:  global
        .offset:         72
        .size:           8
        .value_kind:     global_buffer
      - .offset:         80
        .size:           4
        .value_kind:     by_value
      - .address_space:  global
        .offset:         88
        .size:           8
        .value_kind:     global_buffer
      - .address_space:  global
        .offset:         96
        .size:           8
        .value_kind:     global_buffer
    .group_segment_fixed_size: 32368
    .kernarg_segment_align: 8
    .kernarg_segment_size: 104
    .language:       OpenCL C
    .language_version:
      - 2
      - 0
    .max_flat_workgroup_size: 238
    .name:           bluestein_single_fwd_len578_dim1_sp_op_CI_CI
    .private_segment_fixed_size: 0
    .sgpr_count:     24
    .sgpr_spill_count: 0
    .symbol:         bluestein_single_fwd_len578_dim1_sp_op_CI_CI.kd
    .uniform_work_group_size: 1
    .uses_dynamic_stack: false
    .vgpr_count:     159
    .vgpr_spill_count: 0
    .wavefront_size: 64
amdhsa.target:   amdgcn-amd-amdhsa--gfx906
amdhsa.version:
  - 1
  - 2
...

	.end_amdgpu_metadata
